;; amdgpu-corpus repo=ROCm/rocFFT kind=compiled arch=gfx1201 opt=O3
	.text
	.amdgcn_target "amdgcn-amd-amdhsa--gfx1201"
	.amdhsa_code_object_version 6
	.protected	fft_rtc_fwd_len1734_factors_17_17_6_wgs_102_tpt_102_halfLds_dp_ip_CI_sbrr_dirReg ; -- Begin function fft_rtc_fwd_len1734_factors_17_17_6_wgs_102_tpt_102_halfLds_dp_ip_CI_sbrr_dirReg
	.globl	fft_rtc_fwd_len1734_factors_17_17_6_wgs_102_tpt_102_halfLds_dp_ip_CI_sbrr_dirReg
	.p2align	8
	.type	fft_rtc_fwd_len1734_factors_17_17_6_wgs_102_tpt_102_halfLds_dp_ip_CI_sbrr_dirReg,@function
fft_rtc_fwd_len1734_factors_17_17_6_wgs_102_tpt_102_halfLds_dp_ip_CI_sbrr_dirReg: ; @fft_rtc_fwd_len1734_factors_17_17_6_wgs_102_tpt_102_halfLds_dp_ip_CI_sbrr_dirReg
; %bb.0:
	s_clause 0x2
	s_load_b64 s[12:13], s[0:1], 0x18
	s_load_b128 s[4:7], s[0:1], 0x0
	s_load_b64 s[10:11], s[0:1], 0x50
	v_mul_u32_u24_e32 v1, 0x283, v0
	v_mov_b32_e32 v3, 0
	s_delay_alu instid0(VALU_DEP_2) | instskip(NEXT) | instid1(VALU_DEP_1)
	v_lshrrev_b32_e32 v1, 16, v1
	v_add_nc_u32_e32 v5, ttmp9, v1
	v_mov_b32_e32 v1, 0
	v_mov_b32_e32 v2, 0
	;; [unrolled: 1-line block ×3, first 2 shown]
	s_wait_kmcnt 0x0
	s_load_b64 s[8:9], s[12:13], 0x0
	v_cmp_lt_u64_e64 s2, s[6:7], 2
	s_delay_alu instid0(VALU_DEP_1)
	s_and_b32 vcc_lo, exec_lo, s2
	s_cbranch_vccnz .LBB0_8
; %bb.1:
	s_load_b64 s[2:3], s[0:1], 0x10
	v_mov_b32_e32 v1, 0
	v_mov_b32_e32 v2, 0
	s_add_nc_u64 s[14:15], s[12:13], 8
	s_mov_b64 s[16:17], 1
	s_wait_kmcnt 0x0
	s_add_nc_u64 s[18:19], s[2:3], 8
	s_mov_b32 s3, 0
.LBB0_2:                                ; =>This Inner Loop Header: Depth=1
	s_load_b64 s[20:21], s[18:19], 0x0
                                        ; implicit-def: $vgpr7_vgpr8
	s_mov_b32 s2, exec_lo
	s_wait_kmcnt 0x0
	v_or_b32_e32 v4, s21, v6
	s_delay_alu instid0(VALU_DEP_1)
	v_cmpx_ne_u64_e32 0, v[3:4]
	s_wait_alu 0xfffe
	s_xor_b32 s22, exec_lo, s2
	s_cbranch_execz .LBB0_4
; %bb.3:                                ;   in Loop: Header=BB0_2 Depth=1
	s_cvt_f32_u32 s2, s20
	s_cvt_f32_u32 s23, s21
	s_sub_nc_u64 s[26:27], 0, s[20:21]
	s_wait_alu 0xfffe
	s_delay_alu instid0(SALU_CYCLE_1) | instskip(SKIP_1) | instid1(SALU_CYCLE_2)
	s_fmamk_f32 s2, s23, 0x4f800000, s2
	s_wait_alu 0xfffe
	v_s_rcp_f32 s2, s2
	s_delay_alu instid0(TRANS32_DEP_1) | instskip(SKIP_1) | instid1(SALU_CYCLE_2)
	s_mul_f32 s2, s2, 0x5f7ffffc
	s_wait_alu 0xfffe
	s_mul_f32 s23, s2, 0x2f800000
	s_wait_alu 0xfffe
	s_delay_alu instid0(SALU_CYCLE_2) | instskip(SKIP_1) | instid1(SALU_CYCLE_2)
	s_trunc_f32 s23, s23
	s_wait_alu 0xfffe
	s_fmamk_f32 s2, s23, 0xcf800000, s2
	s_cvt_u32_f32 s25, s23
	s_wait_alu 0xfffe
	s_delay_alu instid0(SALU_CYCLE_1) | instskip(SKIP_1) | instid1(SALU_CYCLE_2)
	s_cvt_u32_f32 s24, s2
	s_wait_alu 0xfffe
	s_mul_u64 s[28:29], s[26:27], s[24:25]
	s_wait_alu 0xfffe
	s_mul_hi_u32 s31, s24, s29
	s_mul_i32 s30, s24, s29
	s_mul_hi_u32 s2, s24, s28
	s_mul_i32 s33, s25, s28
	s_wait_alu 0xfffe
	s_add_nc_u64 s[30:31], s[2:3], s[30:31]
	s_mul_hi_u32 s23, s25, s28
	s_mul_hi_u32 s34, s25, s29
	s_add_co_u32 s2, s30, s33
	s_wait_alu 0xfffe
	s_add_co_ci_u32 s2, s31, s23
	s_mul_i32 s28, s25, s29
	s_add_co_ci_u32 s29, s34, 0
	s_wait_alu 0xfffe
	s_add_nc_u64 s[28:29], s[2:3], s[28:29]
	s_wait_alu 0xfffe
	v_add_co_u32 v4, s2, s24, s28
	s_delay_alu instid0(VALU_DEP_1) | instskip(SKIP_1) | instid1(VALU_DEP_1)
	s_cmp_lg_u32 s2, 0
	s_add_co_ci_u32 s25, s25, s29
	v_readfirstlane_b32 s24, v4
	s_wait_alu 0xfffe
	s_delay_alu instid0(VALU_DEP_1)
	s_mul_u64 s[26:27], s[26:27], s[24:25]
	s_wait_alu 0xfffe
	s_mul_hi_u32 s29, s24, s27
	s_mul_i32 s28, s24, s27
	s_mul_hi_u32 s2, s24, s26
	s_mul_i32 s30, s25, s26
	s_wait_alu 0xfffe
	s_add_nc_u64 s[28:29], s[2:3], s[28:29]
	s_mul_hi_u32 s23, s25, s26
	s_mul_hi_u32 s24, s25, s27
	s_wait_alu 0xfffe
	s_add_co_u32 s2, s28, s30
	s_add_co_ci_u32 s2, s29, s23
	s_mul_i32 s26, s25, s27
	s_add_co_ci_u32 s27, s24, 0
	s_wait_alu 0xfffe
	s_add_nc_u64 s[26:27], s[2:3], s[26:27]
	s_wait_alu 0xfffe
	v_add_co_u32 v4, s2, v4, s26
	s_delay_alu instid0(VALU_DEP_1) | instskip(SKIP_1) | instid1(VALU_DEP_1)
	s_cmp_lg_u32 s2, 0
	s_add_co_ci_u32 s2, s25, s27
	v_mul_hi_u32 v13, v5, v4
	s_wait_alu 0xfffe
	v_mad_co_u64_u32 v[7:8], null, v5, s2, 0
	v_mad_co_u64_u32 v[9:10], null, v6, v4, 0
	;; [unrolled: 1-line block ×3, first 2 shown]
	s_delay_alu instid0(VALU_DEP_3) | instskip(SKIP_1) | instid1(VALU_DEP_4)
	v_add_co_u32 v4, vcc_lo, v13, v7
	s_wait_alu 0xfffd
	v_add_co_ci_u32_e32 v7, vcc_lo, 0, v8, vcc_lo
	s_delay_alu instid0(VALU_DEP_2) | instskip(SKIP_1) | instid1(VALU_DEP_2)
	v_add_co_u32 v4, vcc_lo, v4, v9
	s_wait_alu 0xfffd
	v_add_co_ci_u32_e32 v4, vcc_lo, v7, v10, vcc_lo
	s_wait_alu 0xfffd
	v_add_co_ci_u32_e32 v7, vcc_lo, 0, v12, vcc_lo
	s_delay_alu instid0(VALU_DEP_2) | instskip(SKIP_1) | instid1(VALU_DEP_2)
	v_add_co_u32 v4, vcc_lo, v4, v11
	s_wait_alu 0xfffd
	v_add_co_ci_u32_e32 v9, vcc_lo, 0, v7, vcc_lo
	s_delay_alu instid0(VALU_DEP_2) | instskip(SKIP_1) | instid1(VALU_DEP_3)
	v_mul_lo_u32 v10, s21, v4
	v_mad_co_u64_u32 v[7:8], null, s20, v4, 0
	v_mul_lo_u32 v11, s20, v9
	s_delay_alu instid0(VALU_DEP_2) | instskip(NEXT) | instid1(VALU_DEP_2)
	v_sub_co_u32 v7, vcc_lo, v5, v7
	v_add3_u32 v8, v8, v11, v10
	s_delay_alu instid0(VALU_DEP_1) | instskip(SKIP_1) | instid1(VALU_DEP_1)
	v_sub_nc_u32_e32 v10, v6, v8
	s_wait_alu 0xfffd
	v_subrev_co_ci_u32_e64 v10, s2, s21, v10, vcc_lo
	v_add_co_u32 v11, s2, v4, 2
	s_wait_alu 0xf1ff
	v_add_co_ci_u32_e64 v12, s2, 0, v9, s2
	v_sub_co_u32 v13, s2, v7, s20
	v_sub_co_ci_u32_e32 v8, vcc_lo, v6, v8, vcc_lo
	s_wait_alu 0xf1ff
	v_subrev_co_ci_u32_e64 v10, s2, 0, v10, s2
	s_delay_alu instid0(VALU_DEP_3) | instskip(NEXT) | instid1(VALU_DEP_3)
	v_cmp_le_u32_e32 vcc_lo, s20, v13
	v_cmp_eq_u32_e64 s2, s21, v8
	s_wait_alu 0xfffd
	v_cndmask_b32_e64 v13, 0, -1, vcc_lo
	v_cmp_le_u32_e32 vcc_lo, s21, v10
	s_wait_alu 0xfffd
	v_cndmask_b32_e64 v14, 0, -1, vcc_lo
	v_cmp_le_u32_e32 vcc_lo, s20, v7
	;; [unrolled: 3-line block ×3, first 2 shown]
	s_wait_alu 0xfffd
	v_cndmask_b32_e64 v15, 0, -1, vcc_lo
	v_cmp_eq_u32_e32 vcc_lo, s21, v10
	s_wait_alu 0xf1ff
	s_delay_alu instid0(VALU_DEP_2)
	v_cndmask_b32_e64 v7, v15, v7, s2
	s_wait_alu 0xfffd
	v_cndmask_b32_e32 v10, v14, v13, vcc_lo
	v_add_co_u32 v13, vcc_lo, v4, 1
	s_wait_alu 0xfffd
	v_add_co_ci_u32_e32 v14, vcc_lo, 0, v9, vcc_lo
	s_delay_alu instid0(VALU_DEP_3) | instskip(SKIP_2) | instid1(VALU_DEP_3)
	v_cmp_ne_u32_e32 vcc_lo, 0, v10
	s_wait_alu 0xfffd
	v_cndmask_b32_e32 v10, v13, v11, vcc_lo
	v_cndmask_b32_e32 v8, v14, v12, vcc_lo
	v_cmp_ne_u32_e32 vcc_lo, 0, v7
	s_wait_alu 0xfffd
	s_delay_alu instid0(VALU_DEP_2)
	v_dual_cndmask_b32 v7, v4, v10 :: v_dual_cndmask_b32 v8, v9, v8
.LBB0_4:                                ;   in Loop: Header=BB0_2 Depth=1
	s_wait_alu 0xfffe
	s_and_not1_saveexec_b32 s2, s22
	s_cbranch_execz .LBB0_6
; %bb.5:                                ;   in Loop: Header=BB0_2 Depth=1
	v_cvt_f32_u32_e32 v4, s20
	s_sub_co_i32 s22, 0, s20
	s_delay_alu instid0(VALU_DEP_1) | instskip(NEXT) | instid1(TRANS32_DEP_1)
	v_rcp_iflag_f32_e32 v4, v4
	v_mul_f32_e32 v4, 0x4f7ffffe, v4
	s_delay_alu instid0(VALU_DEP_1) | instskip(SKIP_1) | instid1(VALU_DEP_1)
	v_cvt_u32_f32_e32 v4, v4
	s_wait_alu 0xfffe
	v_mul_lo_u32 v7, s22, v4
	s_delay_alu instid0(VALU_DEP_1) | instskip(NEXT) | instid1(VALU_DEP_1)
	v_mul_hi_u32 v7, v4, v7
	v_add_nc_u32_e32 v4, v4, v7
	s_delay_alu instid0(VALU_DEP_1) | instskip(NEXT) | instid1(VALU_DEP_1)
	v_mul_hi_u32 v4, v5, v4
	v_mul_lo_u32 v7, v4, s20
	v_add_nc_u32_e32 v8, 1, v4
	s_delay_alu instid0(VALU_DEP_2) | instskip(NEXT) | instid1(VALU_DEP_1)
	v_sub_nc_u32_e32 v7, v5, v7
	v_subrev_nc_u32_e32 v9, s20, v7
	v_cmp_le_u32_e32 vcc_lo, s20, v7
	s_wait_alu 0xfffd
	s_delay_alu instid0(VALU_DEP_2) | instskip(NEXT) | instid1(VALU_DEP_1)
	v_dual_cndmask_b32 v7, v7, v9 :: v_dual_cndmask_b32 v4, v4, v8
	v_cmp_le_u32_e32 vcc_lo, s20, v7
	s_delay_alu instid0(VALU_DEP_2) | instskip(SKIP_1) | instid1(VALU_DEP_1)
	v_add_nc_u32_e32 v8, 1, v4
	s_wait_alu 0xfffd
	v_dual_cndmask_b32 v7, v4, v8 :: v_dual_mov_b32 v8, v3
.LBB0_6:                                ;   in Loop: Header=BB0_2 Depth=1
	s_wait_alu 0xfffe
	s_or_b32 exec_lo, exec_lo, s2
	s_load_b64 s[22:23], s[14:15], 0x0
	s_delay_alu instid0(VALU_DEP_1)
	v_mul_lo_u32 v4, v8, s20
	v_mul_lo_u32 v11, v7, s21
	v_mad_co_u64_u32 v[9:10], null, v7, s20, 0
	s_add_nc_u64 s[16:17], s[16:17], 1
	s_add_nc_u64 s[14:15], s[14:15], 8
	s_wait_alu 0xfffe
	v_cmp_ge_u64_e64 s2, s[16:17], s[6:7]
	s_add_nc_u64 s[18:19], s[18:19], 8
	s_delay_alu instid0(VALU_DEP_2) | instskip(NEXT) | instid1(VALU_DEP_3)
	v_add3_u32 v4, v10, v11, v4
	v_sub_co_u32 v5, vcc_lo, v5, v9
	s_wait_alu 0xfffd
	s_delay_alu instid0(VALU_DEP_2) | instskip(SKIP_3) | instid1(VALU_DEP_2)
	v_sub_co_ci_u32_e32 v4, vcc_lo, v6, v4, vcc_lo
	s_and_b32 vcc_lo, exec_lo, s2
	s_wait_kmcnt 0x0
	v_mul_lo_u32 v6, s23, v5
	v_mul_lo_u32 v4, s22, v4
	v_mad_co_u64_u32 v[1:2], null, s22, v5, v[1:2]
	s_delay_alu instid0(VALU_DEP_1)
	v_add3_u32 v2, v6, v2, v4
	s_wait_alu 0xfffe
	s_cbranch_vccnz .LBB0_9
; %bb.7:                                ;   in Loop: Header=BB0_2 Depth=1
	v_dual_mov_b32 v5, v7 :: v_dual_mov_b32 v6, v8
	s_branch .LBB0_2
.LBB0_8:
	v_dual_mov_b32 v8, v6 :: v_dual_mov_b32 v7, v5
.LBB0_9:
	s_lshl_b64 s[2:3], s[6:7], 3
	v_mul_hi_u32 v3, 0x2828283, v0
	s_wait_alu 0xfffe
	s_add_nc_u64 s[2:3], s[12:13], s[2:3]
                                        ; implicit-def: $vgpr129
                                        ; implicit-def: $vgpr127
	s_load_b64 s[2:3], s[2:3], 0x0
	s_load_b64 s[0:1], s[0:1], 0x20
	s_delay_alu instid0(VALU_DEP_1) | instskip(NEXT) | instid1(VALU_DEP_1)
	v_mul_u32_u24_e32 v3, 0x66, v3
	v_sub_nc_u32_e32 v126, v0, v3
	s_delay_alu instid0(VALU_DEP_1)
	v_add_nc_u32_e32 v128, 0x66, v126
	s_wait_kmcnt 0x0
	v_mul_lo_u32 v4, s2, v8
	v_mul_lo_u32 v5, s3, v7
	v_mad_co_u64_u32 v[1:2], null, s2, v7, v[1:2]
	v_cmp_gt_u64_e32 vcc_lo, s[0:1], v[7:8]
	v_cmp_le_u64_e64 s0, s[0:1], v[7:8]
	s_delay_alu instid0(VALU_DEP_3) | instskip(NEXT) | instid1(VALU_DEP_2)
	v_add3_u32 v2, v5, v2, v4
	s_and_saveexec_b32 s1, s0
	s_wait_alu 0xfffe
	s_xor_b32 s0, exec_lo, s1
; %bb.10:
	v_add_nc_u32_e32 v129, 0x66, v126
	v_add_nc_u32_e32 v127, 0xcc, v126
; %bb.11:
	s_wait_alu 0xfffe
	s_or_saveexec_b32 s1, s0
	v_lshlrev_b64_e32 v[68:69], 4, v[1:2]
                                        ; implicit-def: $vgpr10_vgpr11
                                        ; implicit-def: $vgpr18_vgpr19
                                        ; implicit-def: $vgpr22_vgpr23
                                        ; implicit-def: $vgpr26_vgpr27
                                        ; implicit-def: $vgpr50_vgpr51
                                        ; implicit-def: $vgpr62_vgpr63
                                        ; implicit-def: $vgpr66_vgpr67
                                        ; implicit-def: $vgpr54_vgpr55
                                        ; implicit-def: $vgpr58_vgpr59
                                        ; implicit-def: $vgpr46_vgpr47
                                        ; implicit-def: $vgpr42_vgpr43
                                        ; implicit-def: $vgpr38_vgpr39
                                        ; implicit-def: $vgpr14_vgpr15
                                        ; implicit-def: $vgpr6_vgpr7
                                        ; implicit-def: $vgpr2_vgpr3
                                        ; implicit-def: $vgpr34_vgpr35
                                        ; implicit-def: $vgpr30_vgpr31
	s_wait_alu 0xfffe
	s_xor_b32 exec_lo, exec_lo, s1
	s_cbranch_execz .LBB0_13
; %bb.12:
	v_mad_co_u64_u32 v[0:1], null, s8, v126, 0
	v_mad_co_u64_u32 v[2:3], null, s8, v128, 0
	v_add_nc_u32_e32 v127, 0xcc, v126
	v_add_co_u32 v50, s0, s10, v68
	s_wait_alu 0xf1ff
	v_add_co_ci_u32_e64 v51, s0, s11, v69, s0
	v_add_nc_u32_e32 v24, 0x396, v126
	v_mad_co_u64_u32 v[4:5], null, s9, v126, v[1:2]
	v_mad_co_u64_u32 v[5:6], null, s8, v127, 0
	v_dual_mov_b32 v129, v128 :: v_dual_add_nc_u32 v26, 0x3fc, v126
	v_add_nc_u32_e32 v12, 0x132, v126
	v_add_nc_u32_e32 v27, 0x462, v126
	v_mad_co_u64_u32 v[7:8], null, s9, v128, v[3:4]
	v_dual_mov_b32 v1, v4 :: v_dual_mov_b32 v4, v6
	s_delay_alu instid0(VALU_DEP_1) | instskip(NEXT) | instid1(VALU_DEP_2)
	v_lshlrev_b64_e32 v[0:1], 4, v[0:1]
	v_mad_co_u64_u32 v[9:10], null, s9, v127, v[4:5]
	s_delay_alu instid0(VALU_DEP_4)
	v_mov_b32_e32 v3, v7
	v_mad_co_u64_u32 v[7:8], null, s8, v12, 0
	v_add_nc_u32_e32 v13, 0x198, v126
	v_add_co_u32 v0, s0, v50, v0
	v_mov_b32_e32 v6, v9
	v_lshlrev_b64_e32 v[2:3], 4, v[2:3]
	s_wait_alu 0xf1ff
	v_add_co_ci_u32_e64 v1, s0, v51, v1, s0
	v_mov_b32_e32 v4, v8
	v_mad_co_u64_u32 v[10:11], null, s8, v13, 0
	s_delay_alu instid0(VALU_DEP_4) | instskip(NEXT) | instid1(VALU_DEP_3)
	v_add_co_u32 v2, s0, v50, v2
	v_mad_co_u64_u32 v[8:9], null, s9, v12, v[4:5]
	v_add_nc_u32_e32 v9, 0x1fe, v126
	s_wait_alu 0xf1ff
	v_add_co_ci_u32_e64 v3, s0, v51, v3, s0
	s_clause 0x1
	global_load_b128 v[28:31], v[0:1], off
	global_load_b128 v[32:35], v[2:3], off
	v_mov_b32_e32 v2, v11
	v_mad_co_u64_u32 v[3:4], null, s8, v9, 0
	v_lshlrev_b64_e32 v[0:1], 4, v[5:6]
	v_add_nc_u32_e32 v12, 0x264, v126
	s_delay_alu instid0(VALU_DEP_3) | instskip(NEXT) | instid1(VALU_DEP_4)
	v_mad_co_u64_u32 v[5:6], null, s9, v13, v[2:3]
	v_mov_b32_e32 v2, v4
	v_lshlrev_b64_e32 v[6:7], 4, v[7:8]
	v_add_co_u32 v0, s0, v50, v0
	s_wait_alu 0xf1ff
	v_add_co_ci_u32_e64 v1, s0, v51, v1, s0
	v_mov_b32_e32 v11, v5
	v_mad_co_u64_u32 v[4:5], null, s9, v9, v[2:3]
	v_mad_co_u64_u32 v[8:9], null, s8, v12, 0
	v_add_co_u32 v5, s0, v50, v6
	s_wait_alu 0xf1ff
	v_add_co_ci_u32_e64 v6, s0, v51, v7, s0
	v_add_nc_u32_e32 v7, 0x2ca, v126
	v_lshlrev_b64_e32 v[3:4], 4, v[3:4]
	v_mov_b32_e32 v2, v9
	v_lshlrev_b64_e32 v[10:11], 4, v[10:11]
	s_delay_alu instid0(VALU_DEP_4) | instskip(NEXT) | instid1(VALU_DEP_3)
	v_mad_co_u64_u32 v[16:17], null, s8, v7, 0
	v_mad_co_u64_u32 v[12:13], null, s9, v12, v[2:3]
	s_delay_alu instid0(VALU_DEP_3) | instskip(SKIP_1) | instid1(VALU_DEP_4)
	v_add_co_u32 v10, s0, v50, v10
	s_wait_alu 0xf1ff
	v_add_co_ci_u32_e64 v11, s0, v51, v11, s0
	s_delay_alu instid0(VALU_DEP_4)
	v_mov_b32_e32 v2, v17
	v_add_co_u32 v17, s0, v50, v3
	v_mov_b32_e32 v9, v12
	s_wait_alu 0xf1ff
	v_add_co_ci_u32_e64 v18, s0, v51, v4, s0
	v_mad_co_u64_u32 v[19:20], null, s9, v7, v[2:3]
	s_clause 0x3
	global_load_b128 v[0:3], v[0:1], off
	global_load_b128 v[4:7], v[5:6], off
	;; [unrolled: 1-line block ×4, first 2 shown]
	v_lshlrev_b64_e32 v[8:9], 4, v[8:9]
	v_mov_b32_e32 v17, v19
	v_mad_co_u64_u32 v[18:19], null, s8, v24, 0
	v_add_nc_u32_e32 v22, 0x330, v126
	s_delay_alu instid0(VALU_DEP_4) | instskip(NEXT) | instid1(VALU_DEP_4)
	v_add_co_u32 v8, s0, v50, v8
	v_lshlrev_b64_e32 v[16:17], 4, v[16:17]
	s_wait_alu 0xf1ff
	v_add_co_ci_u32_e64 v9, s0, v51, v9, s0
	v_mad_co_u64_u32 v[20:21], null, s8, v22, 0
	s_delay_alu instid0(VALU_DEP_3)
	v_add_co_u32 v16, s0, v50, v16
	s_wait_alu 0xf1ff
	v_add_co_ci_u32_e64 v17, s0, v51, v17, s0
	s_clause 0x1
	global_load_b128 v[40:43], v[8:9], off
	global_load_b128 v[44:47], v[16:17], off
	v_mov_b32_e32 v10, v21
	s_delay_alu instid0(VALU_DEP_1) | instskip(SKIP_2) | instid1(VALU_DEP_3)
	v_mad_co_u64_u32 v[10:11], null, s9, v22, v[10:11]
	v_mov_b32_e32 v11, v19
	v_mad_co_u64_u32 v[22:23], null, s8, v26, 0
	v_mov_b32_e32 v21, v10
	s_delay_alu instid0(VALU_DEP_1) | instskip(NEXT) | instid1(VALU_DEP_1)
	v_lshlrev_b64_e32 v[8:9], 4, v[20:21]
	v_add_co_u32 v8, s0, v50, v8
	s_wait_alu 0xf1ff
	s_delay_alu instid0(VALU_DEP_2) | instskip(SKIP_4) | instid1(VALU_DEP_3)
	v_add_co_ci_u32_e64 v9, s0, v51, v9, s0
	s_wait_loadcnt 0x3
	v_mad_co_u64_u32 v[10:11], null, s9, v24, v[11:12]
	v_mad_co_u64_u32 v[24:25], null, s8, v27, 0
	v_mov_b32_e32 v11, v23
	v_mov_b32_e32 v19, v10
	s_delay_alu instid0(VALU_DEP_2) | instskip(NEXT) | instid1(VALU_DEP_4)
	v_mad_co_u64_u32 v[16:17], null, s9, v26, v[11:12]
	v_mov_b32_e32 v10, v25
	v_add_nc_u32_e32 v26, 0x52e, v126
	s_delay_alu instid0(VALU_DEP_4) | instskip(NEXT) | instid1(VALU_DEP_3)
	v_lshlrev_b64_e32 v[17:18], 4, v[18:19]
	v_mad_co_u64_u32 v[10:11], null, s9, v27, v[10:11]
	v_add_nc_u32_e32 v11, 0x4c8, v126
	s_delay_alu instid0(VALU_DEP_1) | instskip(SKIP_1) | instid1(VALU_DEP_4)
	v_mad_co_u64_u32 v[20:21], null, s8, v11, 0
	v_mov_b32_e32 v23, v16
	v_mov_b32_e32 v25, v10
	v_add_co_u32 v16, s0, v50, v17
	s_wait_alu 0xf1ff
	v_add_co_ci_u32_e64 v17, s0, v51, v18, s0
	v_mov_b32_e32 v10, v21
	v_lshlrev_b64_e32 v[18:19], 4, v[22:23]
	s_clause 0x1
	global_load_b128 v[56:59], v[8:9], off
	global_load_b128 v[52:55], v[16:17], off
	v_lshlrev_b64_e32 v[16:17], 4, v[24:25]
	v_mad_co_u64_u32 v[10:11], null, s9, v11, v[10:11]
	v_add_nc_u32_e32 v48, 0x594, v126
	v_add_co_u32 v8, s0, v50, v18
	s_wait_alu 0xf1ff
	v_add_co_ci_u32_e64 v9, s0, v51, v19, s0
	v_mad_co_u64_u32 v[18:19], null, s8, v26, 0
	v_mov_b32_e32 v21, v10
	v_mad_co_u64_u32 v[22:23], null, s8, v48, 0
	v_add_nc_u32_e32 v70, 0x5fa, v126
	v_add_co_u32 v16, s0, v50, v16
	v_mov_b32_e32 v10, v19
	s_wait_alu 0xf1ff
	v_add_co_ci_u32_e64 v17, s0, v51, v17, s0
	v_mov_b32_e32 v11, v23
	v_mad_co_u64_u32 v[24:25], null, s8, v70, 0
	v_add_nc_u32_e32 v71, 0x660, v126
	s_clause 0x1
	global_load_b128 v[64:67], v[8:9], off
	global_load_b128 v[60:63], v[16:17], off
	v_mad_co_u64_u32 v[26:27], null, s9, v26, v[10:11]
	v_mad_co_u64_u32 v[10:11], null, s9, v48, v[11:12]
	v_mov_b32_e32 v8, v25
	v_mad_co_u64_u32 v[48:49], null, s8, v71, 0
	v_lshlrev_b64_e32 v[16:17], 4, v[20:21]
	v_mov_b32_e32 v19, v26
	s_delay_alu instid0(VALU_DEP_4)
	v_mad_co_u64_u32 v[8:9], null, s9, v70, v[8:9]
	v_mov_b32_e32 v23, v10
	v_mov_b32_e32 v9, v49
	v_add_co_u32 v10, s0, v50, v16
	s_wait_alu 0xf1ff
	v_add_co_ci_u32_e64 v11, s0, v51, v17, s0
	v_lshlrev_b64_e32 v[16:17], 4, v[18:19]
	s_delay_alu instid0(VALU_DEP_3) | instskip(SKIP_2) | instid1(VALU_DEP_4)
	v_mad_co_u64_u32 v[18:19], null, s9, v71, v[9:10]
	v_lshlrev_b64_e32 v[19:20], 4, v[22:23]
	v_mov_b32_e32 v25, v8
	v_add_co_u32 v8, s0, v50, v16
	s_wait_alu 0xf1ff
	v_add_co_ci_u32_e64 v9, s0, v51, v17, s0
	v_mov_b32_e32 v49, v18
	v_lshlrev_b64_e32 v[16:17], 4, v[24:25]
	v_add_co_u32 v18, s0, v50, v19
	s_wait_alu 0xf1ff
	v_add_co_ci_u32_e64 v19, s0, v51, v20, s0
	v_lshlrev_b64_e32 v[20:21], 4, v[48:49]
	s_delay_alu instid0(VALU_DEP_4) | instskip(SKIP_2) | instid1(VALU_DEP_3)
	v_add_co_u32 v16, s0, v50, v16
	s_wait_alu 0xf1ff
	v_add_co_ci_u32_e64 v17, s0, v51, v17, s0
	v_add_co_u32 v70, s0, v50, v20
	s_wait_alu 0xf1ff
	v_add_co_ci_u32_e64 v71, s0, v51, v21, s0
	s_clause 0x4
	global_load_b128 v[48:51], v[10:11], off
	global_load_b128 v[24:27], v[8:9], off
	;; [unrolled: 1-line block ×5, first 2 shown]
.LBB0_13:
	s_or_b32 exec_lo, exec_lo, s1
	v_add_f64_e32 v[70:71], v[32:33], v[28:29]
	v_add_f64_e32 v[72:73], v[34:35], v[30:31]
	s_wait_loadcnt 0x7
	v_add_f64_e32 v[76:77], v[52:53], v[56:57]
	v_add_f64_e64 v[74:75], v[58:59], -v[54:55]
	s_wait_loadcnt 0x6
	v_add_f64_e32 v[82:83], v[64:65], v[44:45]
	v_add_f64_e64 v[78:79], v[46:47], -v[66:67]
	;; [unrolled: 3-line block ×3, first 2 shown]
	s_wait_loadcnt 0x4
	v_add_f64_e64 v[90:91], v[38:39], -v[50:51]
	s_mov_b32 s14, 0x370991
	s_mov_b32 s12, 0x75d4884
	;; [unrolled: 1-line block ×16, first 2 shown]
	v_add_f64_e32 v[92:93], v[48:49], v[36:37]
	s_mov_b32 s36, 0x5d8e7cdc
	s_mov_b32 s28, 0x2a9d6da3
	s_mov_b32 s24, 0x7c9e640b
	s_mov_b32 s26, 0xeb564b22
	s_mov_b32 s50, 0x923c349f
	s_mov_b32 s46, 0x6c9a05f6
	s_mov_b32 s54, 0x4363dd80
	s_mov_b32 s56, 0xacd6c6b4
	s_mov_b32 s37, 0x3fd71e95
	s_mov_b32 s43, 0xbfd71e95
	s_mov_b32 s29, 0x3fe58eea
	s_mov_b32 s49, 0xbfe58eea
	v_add_f64_e32 v[70:71], v[0:1], v[70:71]
	v_add_f64_e32 v[72:73], v[2:3], v[72:73]
	s_mov_b32 s25, 0x3feca52d
	s_mov_b32 s53, 0xbfeca52d
	;; [unrolled: 1-line block ×13, first 2 shown]
	s_wait_alu 0xfffe
	s_mov_b32 s48, s28
	s_mov_b32 s52, s24
	;; [unrolled: 1-line block ×7, first 2 shown]
	v_cmp_gt_u32_e64 s0, 0x55, v126
	s_delay_alu instid0(VALU_DEP_3) | instskip(NEXT) | instid1(VALU_DEP_3)
	v_add_f64_e32 v[70:71], v[4:5], v[70:71]
	v_add_f64_e32 v[72:73], v[6:7], v[72:73]
	s_delay_alu instid0(VALU_DEP_2) | instskip(NEXT) | instid1(VALU_DEP_2)
	v_add_f64_e32 v[70:71], v[12:13], v[70:71]
	v_add_f64_e32 v[72:73], v[14:15], v[72:73]
	s_delay_alu instid0(VALU_DEP_2) | instskip(NEXT) | instid1(VALU_DEP_2)
	v_add_f64_e32 v[70:71], v[36:37], v[70:71]
	v_add_f64_e32 v[72:73], v[38:39], v[72:73]
	v_add_f64_e64 v[36:37], v[36:37], -v[48:49]
	s_delay_alu instid0(VALU_DEP_3) | instskip(NEXT) | instid1(VALU_DEP_3)
	v_add_f64_e32 v[70:71], v[40:41], v[70:71]
	v_add_f64_e32 v[72:73], v[42:43], v[72:73]
	v_add_f64_e64 v[40:41], v[40:41], -v[60:61]
	s_delay_alu instid0(VALU_DEP_3) | instskip(NEXT) | instid1(VALU_DEP_3)
	v_add_f64_e32 v[70:71], v[44:45], v[70:71]
	v_add_f64_e32 v[72:73], v[46:47], v[72:73]
	s_delay_alu instid0(VALU_DEP_2) | instskip(NEXT) | instid1(VALU_DEP_2)
	v_add_f64_e32 v[70:71], v[56:57], v[70:71]
	v_add_f64_e32 v[72:73], v[58:59], v[72:73]
	;; [unrolled: 1-line block ×3, first 2 shown]
	v_add_f64_e64 v[56:57], v[56:57], -v[52:53]
	s_delay_alu instid0(VALU_DEP_4) | instskip(NEXT) | instid1(VALU_DEP_4)
	v_add_f64_e32 v[70:71], v[52:53], v[70:71]
	v_add_f64_e32 v[72:73], v[54:55], v[72:73]
	;; [unrolled: 1-line block ×3, first 2 shown]
	v_add_f64_e64 v[54:55], v[44:45], -v[64:65]
	v_add_f64_e32 v[44:45], v[62:63], v[42:43]
	v_add_f64_e32 v[42:43], v[50:51], v[38:39]
	s_wait_loadcnt 0x0
	v_add_f64_e32 v[38:39], v[8:9], v[32:33]
	v_add_f64_e64 v[32:33], v[32:33], -v[8:9]
	v_add_f64_e32 v[46:47], v[64:65], v[70:71]
	v_add_f64_e32 v[64:65], v[66:67], v[72:73]
	s_delay_alu instid0(VALU_DEP_4)
	v_mul_f64_e32 v[66:67], s[18:19], v[38:39]
	v_mul_f64_e32 v[70:71], s[20:21], v[38:39]
	;; [unrolled: 1-line block ×6, first 2 shown]
	v_add_f64_e32 v[46:47], v[60:61], v[46:47]
	v_add_f64_e32 v[60:61], v[62:63], v[64:65]
	v_mul_f64_e32 v[62:63], s[2:3], v[38:39]
	v_mul_f64_e32 v[64:65], s[16:17], v[38:39]
	s_delay_alu instid0(VALU_DEP_4) | instskip(NEXT) | instid1(VALU_DEP_4)
	v_add_f64_e32 v[130:131], v[48:49], v[46:47]
	v_add_f64_e32 v[132:133], v[50:51], v[60:61]
	;; [unrolled: 1-line block ×3, first 2 shown]
	v_add_f64_e64 v[34:35], v[34:35], -v[10:11]
	v_mul_f64_e32 v[48:49], s[14:15], v[38:39]
	v_mul_f64_e32 v[50:51], s[12:13], v[38:39]
	v_mul_f64_e32 v[60:61], s[6:7], v[38:39]
	v_mul_f64_e32 v[38:39], s[22:23], v[38:39]
	v_fma_f64 v[114:115], v[46:47], s[2:3], v[94:95]
	v_fma_f64 v[100:101], v[34:35], s[26:27], v[62:63]
	;; [unrolled: 1-line block ×17, first 2 shown]
	v_mul_f64_e32 v[34:35], s[42:43], v[32:33]
	v_mul_f64_e32 v[38:39], s[48:49], v[32:33]
	;; [unrolled: 1-line block ×4, first 2 shown]
	v_fma_f64 v[116:117], v[46:47], s[2:3], -v[94:95]
	v_fma_f64 v[118:119], v[46:47], s[16:17], v[96:97]
	v_fma_f64 v[136:137], v[46:47], s[16:17], -v[96:97]
	v_fma_f64 v[138:139], v[46:47], s[18:19], v[98:99]
	;; [unrolled: 2-line block ×3, first 2 shown]
	v_fma_f64 v[144:145], v[46:47], s[20:21], -v[102:103]
	v_add_f64_e32 v[150:151], v[28:29], v[100:101]
	v_add_f64_e32 v[98:99], v[28:29], v[72:73]
	;; [unrolled: 1-line block ×4, first 2 shown]
	v_add_f64_e64 v[100:101], v[14:15], -v[26:27]
	v_add_f64_e32 v[152:153], v[28:29], v[106:107]
	v_add_f64_e64 v[106:107], v[12:13], -v[24:25]
	v_fma_f64 v[104:105], v[46:47], s[14:15], v[34:35]
	v_fma_f64 v[34:35], v[46:47], s[14:15], -v[34:35]
	v_fma_f64 v[110:111], v[46:47], s[12:13], v[38:39]
	v_fma_f64 v[38:39], v[46:47], s[12:13], -v[38:39]
	;; [unrolled: 2-line block ×4, first 2 shown]
	v_add_f64_e32 v[46:47], v[30:31], v[116:117]
	v_add_f64_e32 v[72:73], v[30:31], v[118:119]
	;; [unrolled: 1-line block ×14, first 2 shown]
	v_mad_u32_u24 v130, 0x88, v126, 0
	v_add_f64_e32 v[94:95], v[30:31], v[104:105]
	v_add_f64_e32 v[32:33], v[30:31], v[34:35]
	v_add_f64_e32 v[86:87], v[30:31], v[110:111]
	v_add_f64_e32 v[110:111], v[28:29], v[50:51]
	v_add_f64_e32 v[34:35], v[30:31], v[38:39]
	v_add_f64_e32 v[104:105], v[28:29], v[88:89]
	v_add_f64_e32 v[88:89], v[30:31], v[112:113]
	v_add_f64_e32 v[112:113], v[28:29], v[60:61]
	v_add_f64_e32 v[38:39], v[30:31], v[70:71]
	v_add_f64_e32 v[70:71], v[30:31], v[114:115]
	v_add_f64_e32 v[114:115], v[28:29], v[62:63]
	v_add_f64_e32 v[50:51], v[30:31], v[140:141]
	v_add_f64_e32 v[60:61], v[30:31], v[144:145]
	v_add_f64_e32 v[62:63], v[30:31], v[146:147]
	v_add_f64_e32 v[28:29], v[30:31], v[148:149]
	v_add_f64_e32 v[30:31], v[26:27], v[14:15]
	v_add_f64_e32 v[14:15], v[26:27], v[132:133]
	v_add_f64_e32 v[131:132], v[16:17], v[0:1]
	v_add_f64_e64 v[133:134], v[2:3], -v[18:19]
	s_delay_alu instid0(VALU_DEP_2) | instskip(SKIP_2) | instid1(VALU_DEP_3)
	v_mul_f64_e32 v[144:145], s[16:17], v[131:132]
	v_mul_f64_e32 v[140:141], s[22:23], v[131:132]
	;; [unrolled: 1-line block ×3, first 2 shown]
	v_fma_f64 v[146:147], v[133:134], s[30:31], v[144:145]
	s_delay_alu instid0(VALU_DEP_3) | instskip(NEXT) | instid1(VALU_DEP_3)
	v_fma_f64 v[24:25], v[133:134], s[56:57], v[140:141]
	v_fma_f64 v[26:27], v[133:134], s[38:39], v[142:143]
	s_delay_alu instid0(VALU_DEP_3) | instskip(SKIP_1) | instid1(VALU_DEP_4)
	v_add_f64_e32 v[135:136], v[146:147], v[136:137]
	v_mul_f64_e32 v[146:147], s[6:7], v[131:132]
	v_add_f64_e32 v[24:25], v[24:25], v[150:151]
	s_delay_alu instid0(VALU_DEP_4) | instskip(SKIP_1) | instid1(VALU_DEP_4)
	v_add_f64_e32 v[26:27], v[26:27], v[152:153]
	v_add_f64_e64 v[150:151], v[6:7], -v[22:23]
	v_fma_f64 v[148:149], v[133:134], s[52:53], v[146:147]
	s_delay_alu instid0(VALU_DEP_1) | instskip(SKIP_1) | instid1(VALU_DEP_1)
	v_add_f64_e32 v[137:138], v[148:149], v[138:139]
	v_add_f64_e32 v[148:149], v[20:21], v[4:5]
	v_mul_f64_e32 v[152:153], s[16:17], v[148:149]
	s_delay_alu instid0(VALU_DEP_1) | instskip(NEXT) | instid1(VALU_DEP_1)
	v_fma_f64 v[154:155], v[150:151], s[30:31], v[152:153]
	v_add_f64_e32 v[24:25], v[154:155], v[24:25]
	v_mul_f64_e32 v[154:155], s[12:13], v[148:149]
	s_delay_alu instid0(VALU_DEP_1) | instskip(NEXT) | instid1(VALU_DEP_1)
	v_fma_f64 v[156:157], v[150:151], s[48:49], v[154:155]
	;; [unrolled: 4-line block ×24, first 2 shown]
	v_add_f64_e32 v[137:138], v[200:201], v[137:138]
	ds_store_2addr_b64 v130, v[24:25], v[26:27] offset0:4 offset1:5
	ds_store_2addr_b64 v130, v[135:136], v[137:138] offset0:6 offset1:7
	v_add_f64_e64 v[26:27], v[4:5], -v[20:21]
	v_add_f64_e32 v[4:5], v[20:21], v[12:13]
	v_mul_f64_e32 v[12:13], s[14:15], v[131:132]
	v_fma_f64 v[20:21], v[133:134], s[50:51], v[144:145]
	v_add_f64_e32 v[24:25], v[22:23], v[6:7]
	v_add_f64_e32 v[6:7], v[22:23], v[14:15]
	v_fma_f64 v[22:23], v[133:134], s[24:25], v[146:147]
	v_fma_f64 v[14:15], v[133:134], s[42:43], v[12:13]
	;; [unrolled: 1-line block ×3, first 2 shown]
	v_add_f64_e32 v[20:21], v[20:21], v[118:119]
	v_mul_f64_e32 v[118:119], s[20:21], v[148:149]
	v_add_f64_e32 v[22:23], v[22:23], v[120:121]
	v_add_f64_e32 v[14:15], v[14:15], v[122:123]
	;; [unrolled: 1-line block ×3, first 2 shown]
	s_delay_alu instid0(VALU_DEP_4) | instskip(SKIP_1) | instid1(VALU_DEP_2)
	v_fma_f64 v[120:121], v[150:151], s[54:55], v[118:119]
	v_fma_f64 v[118:119], v[150:151], s[38:39], v[118:119]
	v_add_f64_e32 v[14:15], v[120:121], v[14:15]
	s_delay_alu instid0(VALU_DEP_2) | instskip(SKIP_1) | instid1(VALU_DEP_1)
	v_add_f64_e32 v[12:13], v[118:119], v[12:13]
	v_fma_f64 v[118:119], v[150:151], s[42:43], v[156:157]
	v_add_f64_e32 v[20:21], v[118:119], v[20:21]
	v_fma_f64 v[118:119], v[150:151], s[44:45], v[158:159]
	s_delay_alu instid0(VALU_DEP_1) | instskip(SKIP_1) | instid1(VALU_DEP_1)
	v_add_f64_e32 v[22:23], v[118:119], v[22:23]
	v_mul_f64_e32 v[118:119], s[12:13], v[108:109]
	v_fma_f64 v[120:121], v[100:101], s[48:49], v[118:119]
	v_fma_f64 v[118:119], v[100:101], s[28:29], v[118:119]
	s_delay_alu instid0(VALU_DEP_2) | instskip(NEXT) | instid1(VALU_DEP_2)
	v_add_f64_e32 v[14:15], v[120:121], v[14:15]
	v_add_f64_e32 v[12:13], v[118:119], v[12:13]
	v_fma_f64 v[118:119], v[100:101], s[38:39], v[164:165]
	s_delay_alu instid0(VALU_DEP_1) | instskip(SKIP_1) | instid1(VALU_DEP_1)
	v_add_f64_e32 v[20:21], v[118:119], v[20:21]
	v_fma_f64 v[118:119], v[100:101], s[46:47], v[166:167]
	v_add_f64_e32 v[22:23], v[118:119], v[22:23]
	v_mul_f64_e32 v[118:119], s[18:19], v[92:93]
	s_delay_alu instid0(VALU_DEP_1) | instskip(SKIP_1) | instid1(VALU_DEP_2)
	v_fma_f64 v[120:121], v[90:91], s[46:47], v[118:119]
	v_fma_f64 v[118:119], v[90:91], s[34:35], v[118:119]
	v_add_f64_e32 v[14:15], v[120:121], v[14:15]
	s_delay_alu instid0(VALU_DEP_2) | instskip(SKIP_1) | instid1(VALU_DEP_1)
	v_add_f64_e32 v[12:13], v[118:119], v[12:13]
	v_fma_f64 v[118:119], v[90:91], s[26:27], v[172:173]
	v_add_f64_e32 v[20:21], v[118:119], v[20:21]
	v_fma_f64 v[118:119], v[90:91], s[42:43], v[174:175]
	s_delay_alu instid0(VALU_DEP_1) | instskip(SKIP_1) | instid1(VALU_DEP_1)
	v_add_f64_e32 v[22:23], v[118:119], v[22:23]
	v_mul_f64_e32 v[118:119], s[6:7], v[84:85]
	v_fma_f64 v[120:121], v[80:81], s[52:53], v[118:119]
	v_fma_f64 v[118:119], v[80:81], s[24:25], v[118:119]
	s_delay_alu instid0(VALU_DEP_2) | instskip(NEXT) | instid1(VALU_DEP_2)
	v_add_f64_e32 v[14:15], v[120:121], v[14:15]
	v_add_f64_e32 v[12:13], v[118:119], v[12:13]
	v_fma_f64 v[118:119], v[80:81], s[48:49], v[180:181]
	s_delay_alu instid0(VALU_DEP_1) | instskip(SKIP_1) | instid1(VALU_DEP_1)
	v_add_f64_e32 v[20:21], v[118:119], v[20:21]
	v_fma_f64 v[118:119], v[80:81], s[40:41], v[182:183]
	v_add_f64_e32 v[22:23], v[118:119], v[22:23]
	v_mul_f64_e32 v[118:119], s[16:17], v[82:83]
	s_delay_alu instid0(VALU_DEP_1) | instskip(SKIP_1) | instid1(VALU_DEP_2)
	v_fma_f64 v[120:121], v[78:79], s[50:51], v[118:119]
	v_fma_f64 v[118:119], v[78:79], s[30:31], v[118:119]
	v_add_f64_e32 v[14:15], v[120:121], v[14:15]
	s_delay_alu instid0(VALU_DEP_2) | instskip(SKIP_1) | instid1(VALU_DEP_1)
	v_add_f64_e32 v[12:13], v[118:119], v[12:13]
	v_fma_f64 v[118:119], v[78:79], s[40:41], v[188:189]
	v_add_f64_e32 v[20:21], v[118:119], v[20:21]
	v_fma_f64 v[118:119], v[78:79], s[28:29], v[190:191]
	s_delay_alu instid0(VALU_DEP_1) | instskip(SKIP_1) | instid1(VALU_DEP_1)
	v_add_f64_e32 v[22:23], v[118:119], v[22:23]
	v_mul_f64_e32 v[118:119], s[2:3], v[76:77]
	v_fma_f64 v[120:121], v[74:75], s[44:45], v[118:119]
	v_fma_f64 v[118:119], v[74:75], s[26:27], v[118:119]
	s_delay_alu instid0(VALU_DEP_2) | instskip(NEXT) | instid1(VALU_DEP_2)
	v_add_f64_e32 v[14:15], v[120:121], v[14:15]
	v_add_f64_e32 v[12:13], v[118:119], v[12:13]
	v_fma_f64 v[118:119], v[74:75], s[24:25], v[196:197]
	s_delay_alu instid0(VALU_DEP_1) | instskip(SKIP_1) | instid1(VALU_DEP_1)
	v_add_f64_e32 v[20:21], v[118:119], v[20:21]
	v_fma_f64 v[118:119], v[74:75], s[30:31], v[198:199]
	v_add_f64_e32 v[22:23], v[118:119], v[22:23]
	v_add_f64_e64 v[118:119], v[0:1], -v[16:17]
	v_add_f64_e32 v[0:1], v[16:17], v[4:5]
	v_fma_f64 v[4:5], v[133:134], s[40:41], v[140:141]
	ds_store_2addr_b64 v130, v[14:15], v[12:13] offset0:8 offset1:9
	ds_store_2addr_b64 v130, v[22:23], v[20:21] offset0:10 offset1:11
	v_add_f64_e32 v[20:21], v[18:19], v[2:3]
	v_add_f64_e32 v[2:3], v[18:19], v[6:7]
	v_fma_f64 v[6:7], v[133:134], s[54:55], v[142:143]
	v_add_f64_e32 v[4:5], v[4:5], v[114:115]
	v_fma_f64 v[22:23], v[150:151], s[50:51], v[152:153]
	v_mul_f64_e32 v[12:13], s[2:3], v[131:132]
	v_mul_f64_e32 v[16:17], s[18:19], v[131:132]
	v_add_f64_e32 v[0:1], v[8:9], v[0:1]
	v_add_f64_e32 v[6:7], v[6:7], v[116:117]
	;; [unrolled: 1-line block ×3, first 2 shown]
	v_fma_f64 v[22:23], v[150:151], s[28:29], v[154:155]
	v_fma_f64 v[14:15], v[133:134], s[44:45], v[12:13]
	;; [unrolled: 1-line block ×3, first 2 shown]
	s_delay_alu instid0(VALU_DEP_3) | instskip(SKIP_1) | instid1(VALU_DEP_4)
	v_add_f64_e32 v[6:7], v[22:23], v[6:7]
	v_mul_f64_e32 v[22:23], s[18:19], v[148:149]
	v_add_f64_e32 v[14:15], v[14:15], v[110:111]
	s_delay_alu instid0(VALU_DEP_4) | instskip(NEXT) | instid1(VALU_DEP_3)
	v_add_f64_e32 v[18:19], v[18:19], v[112:113]
	v_fma_f64 v[110:111], v[150:151], s[34:35], v[22:23]
	s_delay_alu instid0(VALU_DEP_1) | instskip(SKIP_1) | instid1(VALU_DEP_1)
	v_add_f64_e32 v[14:15], v[110:111], v[14:15]
	v_mul_f64_e32 v[110:111], s[22:23], v[148:149]
	v_fma_f64 v[112:113], v[150:151], s[56:57], v[110:111]
	s_delay_alu instid0(VALU_DEP_1) | instskip(SKIP_1) | instid1(VALU_DEP_1)
	v_add_f64_e32 v[18:19], v[112:113], v[18:19]
	v_fma_f64 v[112:113], v[100:101], s[36:37], v[160:161]
	v_add_f64_e32 v[4:5], v[112:113], v[4:5]
	v_fma_f64 v[112:113], v[100:101], s[52:53], v[162:163]
	s_delay_alu instid0(VALU_DEP_1) | instskip(SKIP_1) | instid1(VALU_DEP_1)
	v_add_f64_e32 v[6:7], v[112:113], v[6:7]
	v_mul_f64_e32 v[112:113], s[22:23], v[108:109]
	v_fma_f64 v[114:115], v[100:101], s[40:41], v[112:113]
	s_delay_alu instid0(VALU_DEP_1) | instskip(SKIP_1) | instid1(VALU_DEP_1)
	v_add_f64_e32 v[14:15], v[114:115], v[14:15]
	v_mul_f64_e32 v[114:115], s[16:17], v[108:109]
	v_fma_f64 v[116:117], v[100:101], s[50:51], v[114:115]
	s_delay_alu instid0(VALU_DEP_1) | instskip(SKIP_1) | instid1(VALU_DEP_1)
	v_add_f64_e32 v[18:19], v[116:117], v[18:19]
	v_fma_f64 v[116:117], v[90:91], s[52:53], v[168:169]
	v_add_f64_e32 v[4:5], v[116:117], v[4:5]
	v_fma_f64 v[116:117], v[90:91], s[40:41], v[170:171]
	s_delay_alu instid0(VALU_DEP_1) | instskip(SKIP_1) | instid1(VALU_DEP_1)
	v_add_f64_e32 v[6:7], v[116:117], v[6:7]
	v_mul_f64_e32 v[116:117], s[20:21], v[92:93]
	;; [unrolled: 13-line block ×5, first 2 shown]
	v_fma_f64 v[141:142], v[74:75], s[36:37], v[139:140]
	s_delay_alu instid0(VALU_DEP_1) | instskip(SKIP_1) | instid1(VALU_DEP_1)
	v_add_f64_e32 v[14:15], v[141:142], v[14:15]
	v_mul_f64_e32 v[141:142], s[20:21], v[76:77]
	v_fma_f64 v[143:144], v[74:75], s[38:39], v[141:142]
	s_delay_alu instid0(VALU_DEP_1)
	v_add_f64_e32 v[18:19], v[143:144], v[18:19]
	v_add_f64_e32 v[143:144], v[10:11], v[2:3]
	v_fma_f64 v[2:3], v[133:134], s[26:27], v[12:13]
	ds_store_2addr_b64 v130, v[6:7], v[4:5] offset0:12 offset1:13
	ds_store_2addr_b64 v130, v[18:19], v[14:15] offset0:14 offset1:15
	v_fma_f64 v[4:5], v[133:134], s[46:47], v[16:17]
	v_fma_f64 v[10:11], v[150:151], s[46:47], v[22:23]
	v_add_f64_e32 v[2:3], v[2:3], v[102:103]
	v_mul_f64_e32 v[6:7], s[12:13], v[131:132]
	v_mul_f64_e32 v[102:103], s[44:45], v[106:107]
	;; [unrolled: 1-line block ×3, first 2 shown]
	v_add_f64_e32 v[4:5], v[4:5], v[104:105]
	v_lshl_add_u32 v105, v129, 3, 0
	v_add_f64_e32 v[2:3], v[10:11], v[2:3]
	v_fma_f64 v[10:11], v[150:151], s[40:41], v[110:111]
	v_fma_f64 v[8:9], v[133:134], s[28:29], v[6:7]
	v_lshlrev_b32_e32 v111, 7, v126
	v_lshl_add_u32 v104, v127, 3, 0
	s_delay_alu instid0(VALU_DEP_4) | instskip(SKIP_4) | instid1(VALU_DEP_4)
	v_add_f64_e32 v[4:5], v[10:11], v[4:5]
	v_mul_f64_e32 v[10:11], s[6:7], v[148:149]
	v_add_f64_e32 v[8:9], v[8:9], v[98:99]
	v_mul_f64_e32 v[98:99], s[34:35], v[26:27]
	v_mul_f64_e32 v[147:148], s[36:37], v[56:57]
	v_fma_f64 v[12:13], v[150:151], s[24:25], v[10:11]
	s_delay_alu instid0(VALU_DEP_1) | instskip(SKIP_2) | instid1(VALU_DEP_2)
	v_add_f64_e32 v[8:9], v[12:13], v[8:9]
	v_fma_f64 v[12:13], v[100:101], s[56:57], v[112:113]
	v_mul_f64_e32 v[112:113], s[40:41], v[106:107]
	v_add_f64_e32 v[2:3], v[12:13], v[2:3]
	v_fma_f64 v[12:13], v[100:101], s[30:31], v[114:115]
	v_mul_f64_e32 v[114:115], s[50:51], v[106:107]
	s_delay_alu instid0(VALU_DEP_2) | instskip(SKIP_1) | instid1(VALU_DEP_1)
	v_add_f64_e32 v[4:5], v[12:13], v[4:5]
	v_mul_f64_e32 v[12:13], s[2:3], v[108:109]
	v_fma_f64 v[14:15], v[100:101], s[26:27], v[12:13]
	s_delay_alu instid0(VALU_DEP_1) | instskip(SKIP_2) | instid1(VALU_DEP_2)
	v_add_f64_e32 v[8:9], v[14:15], v[8:9]
	v_fma_f64 v[14:15], v[90:91], s[38:39], v[116:117]
	v_mul_f64_e32 v[116:117], s[30:31], v[36:37]
	v_add_f64_e32 v[2:3], v[14:15], v[2:3]
	v_fma_f64 v[14:15], v[90:91], s[48:49], v[120:121]
	v_mul_f64_e32 v[120:121], s[54:55], v[36:37]
	s_delay_alu instid0(VALU_DEP_2) | instskip(SKIP_1) | instid1(VALU_DEP_1)
	v_add_f64_e32 v[4:5], v[14:15], v[4:5]
	;; [unrolled: 11-line block ×3, first 2 shown]
	v_mul_f64_e32 v[16:17], s[18:19], v[84:85]
	v_fma_f64 v[18:19], v[80:81], s[46:47], v[16:17]
	s_delay_alu instid0(VALU_DEP_1) | instskip(SKIP_2) | instid1(VALU_DEP_2)
	v_add_f64_e32 v[8:9], v[18:19], v[8:9]
	v_fma_f64 v[18:19], v[78:79], s[52:53], v[135:136]
	v_mul_f64_e32 v[135:136], s[38:39], v[54:55]
	v_add_f64_e32 v[2:3], v[18:19], v[2:3]
	v_fma_f64 v[18:19], v[78:79], s[26:27], v[137:138]
	v_mul_f64_e32 v[137:138], s[24:25], v[54:55]
	s_delay_alu instid0(VALU_DEP_2) | instskip(SKIP_2) | instid1(VALU_DEP_2)
	v_add_f64_e32 v[4:5], v[18:19], v[4:5]
	v_mul_f64_e32 v[18:19], s[20:21], v[82:83]
	v_mul_f64_e32 v[82:83], s[34:35], v[118:119]
	v_fma_f64 v[22:23], v[78:79], s[54:55], v[18:19]
	s_delay_alu instid0(VALU_DEP_1) | instskip(SKIP_2) | instid1(VALU_DEP_2)
	v_add_f64_e32 v[8:9], v[22:23], v[8:9]
	v_fma_f64 v[22:23], v[74:75], s[42:43], v[139:140]
	v_mul_f64_e32 v[139:140], s[44:45], v[54:55]
	v_add_f64_e32 v[2:3], v[22:23], v[2:3]
	v_fma_f64 v[22:23], v[74:75], s[54:55], v[141:142]
	v_mul_f64_e32 v[141:142], s[40:41], v[56:57]
	s_delay_alu instid0(VALU_DEP_2) | instskip(SKIP_1) | instid1(VALU_DEP_1)
	v_add_f64_e32 v[4:5], v[22:23], v[4:5]
	v_mul_f64_e32 v[22:23], s[22:23], v[76:77]
	v_fma_f64 v[76:77], v[74:75], s[56:57], v[22:23]
	s_delay_alu instid0(VALU_DEP_1)
	v_add_f64_e32 v[8:9], v[76:77], v[8:9]
	ds_store_2addr_b64 v130, v[2:3], v[4:5] offset0:2 offset1:3
	ds_store_2addr_b64 v130, v[0:1], v[8:9] offset1:1
	v_fma_f64 v[0:1], v[133:134], s[48:49], v[6:7]
	v_fma_f64 v[2:3], v[150:151], s[52:53], v[10:11]
	;; [unrolled: 1-line block ×3, first 2 shown]
	v_mul_f64_e32 v[78:79], s[48:49], v[118:119]
	v_fma_f64 v[6:7], v[90:91], s[30:31], v[14:15]
	v_fma_f64 v[8:9], v[80:81], s[34:35], v[16:17]
	v_mul_f64_e32 v[80:81], s[44:45], v[118:119]
	v_fma_f64 v[4:5], v[100:101], s[44:45], v[12:13]
	v_fma_f64 v[18:19], v[20:21], s[18:19], v[82:83]
	v_mul_f64_e32 v[100:101], s[56:57], v[26:27]
	v_mul_f64_e32 v[133:134], s[42:43], v[40:41]
	;; [unrolled: 1-line block ×3, first 2 shown]
	v_fma_f64 v[12:13], v[74:75], s[40:41], v[22:23]
	v_add_f64_e32 v[0:1], v[0:1], v[96:97]
	v_mul_f64_e32 v[96:97], s[52:53], v[26:27]
	v_fma_f64 v[14:15], v[20:21], s[12:13], v[78:79]
	v_fma_f64 v[16:17], v[20:21], s[2:3], v[80:81]
	v_add_f64_e32 v[18:19], v[18:19], v[88:89]
	v_add_f64_e32 v[0:1], v[2:3], v[0:1]
	v_fma_f64 v[2:3], v[24:25], s[6:7], v[96:97]
	v_add_f64_e32 v[14:15], v[14:15], v[94:95]
	v_add_f64_e32 v[16:17], v[16:17], v[86:87]
	s_delay_alu instid0(VALU_DEP_4) | instskip(SKIP_1) | instid1(VALU_DEP_4)
	v_add_f64_e32 v[0:1], v[4:5], v[0:1]
	v_fma_f64 v[4:5], v[30:31], s[2:3], v[102:103]
	v_add_f64_e32 v[2:3], v[2:3], v[14:15]
	v_fma_f64 v[14:15], v[24:25], s[18:19], v[98:99]
	s_delay_alu instid0(VALU_DEP_4) | instskip(SKIP_1) | instid1(VALU_DEP_4)
	v_add_f64_e32 v[0:1], v[6:7], v[0:1]
	v_fma_f64 v[6:7], v[42:43], s[16:17], v[116:117]
	v_add_f64_e32 v[2:3], v[4:5], v[2:3]
	s_delay_alu instid0(VALU_DEP_4)
	v_add_f64_e32 v[14:15], v[14:15], v[16:17]
	v_fma_f64 v[16:17], v[24:25], s[22:23], v[100:101]
	v_fma_f64 v[4:5], v[30:31], s[22:23], v[112:113]
	v_add_f64_e32 v[0:1], v[8:9], v[0:1]
	v_fma_f64 v[8:9], v[44:45], s[18:19], v[124:125]
	v_add_f64_e32 v[2:3], v[6:7], v[2:3]
	;; [unrolled: 2-line block ×3, first 2 shown]
	v_add_f64_e32 v[4:5], v[4:5], v[14:15]
	v_fma_f64 v[14:15], v[30:31], s[16:17], v[114:115]
	v_sub_nc_u32_e32 v18, v130, v111
	s_delay_alu instid0(VALU_DEP_1)
	v_add_nc_u32_e32 v19, 0x800, v18
	v_add_nc_u32_e32 v205, 0xc00, v18
	;; [unrolled: 1-line block ×7, first 2 shown]
	v_add_f64_e32 v[0:1], v[10:11], v[0:1]
	v_add_f64_e32 v[2:3], v[8:9], v[2:3]
	v_fma_f64 v[8:9], v[44:45], s[16:17], v[131:132]
	v_add_f64_e32 v[4:5], v[6:7], v[4:5]
	v_add_f64_e32 v[14:15], v[14:15], v[16:17]
	v_fma_f64 v[6:7], v[42:43], s[12:13], v[122:123]
	v_add_f64_e32 v[0:1], v[12:13], v[0:1]
	s_delay_alu instid0(VALU_DEP_4) | instskip(SKIP_1) | instid1(VALU_DEP_4)
	v_add_f64_e32 v[4:5], v[8:9], v[4:5]
	v_fma_f64 v[8:9], v[44:45], s[14:15], v[133:134]
	v_add_f64_e32 v[6:7], v[6:7], v[14:15]
	ds_store_b64 v130, v[0:1] offset:128
	global_wb scope:SCOPE_SE
	s_wait_dscnt 0x0
	s_barrier_signal -1
	s_barrier_wait -1
	global_inv scope:SCOPE_SE
	v_add_f64_e32 v[6:7], v[8:9], v[6:7]
	v_fma_f64 v[8:9], v[52:53], s[20:21], v[135:136]
	s_delay_alu instid0(VALU_DEP_1) | instskip(SKIP_1) | instid1(VALU_DEP_1)
	v_add_f64_e32 v[2:3], v[8:9], v[2:3]
	v_fma_f64 v[8:9], v[52:53], s[6:7], v[137:138]
	v_add_f64_e32 v[4:5], v[8:9], v[4:5]
	v_fma_f64 v[8:9], v[52:53], s[2:3], v[139:140]
	s_delay_alu instid0(VALU_DEP_1) | instskip(SKIP_1) | instid1(VALU_DEP_1)
	v_add_f64_e32 v[6:7], v[8:9], v[6:7]
	v_fma_f64 v[8:9], v[58:59], s[22:23], v[141:142]
	;; [unrolled: 5-line block ×3, first 2 shown]
	v_add_f64_e32 v[153:154], v[2:3], v[6:7]
	ds_load_b64 v[16:17], v105
	ds_load_b64 v[12:13], v18
	;; [unrolled: 1-line block ×3, first 2 shown]
	ds_load_2addr_b64 v[74:77], v19 offset0:50 offset1:152
	ds_load_2addr_b64 v[84:87], v205 offset0:126 offset1:228
	;; [unrolled: 1-line block ×7, first 2 shown]
	global_wb scope:SCOPE_SE
	s_wait_dscnt 0x0
	s_barrier_signal -1
	s_barrier_wait -1
	global_inv scope:SCOPE_SE
	ds_store_2addr_b64 v130, v[143:144], v[145:146] offset1:1
	ds_store_2addr_b64 v130, v[149:150], v[153:154] offset0:2 offset1:3
	v_mul_f64_e32 v[143:144], s[40:41], v[118:119]
	s_delay_alu instid0(VALU_DEP_1) | instskip(NEXT) | instid1(VALU_DEP_1)
	v_fma_f64 v[145:146], v[20:21], s[22:23], v[143:144]
	v_add_f64_e32 v[70:71], v[145:146], v[70:71]
	v_mul_f64_e32 v[145:146], s[54:55], v[118:119]
	s_delay_alu instid0(VALU_DEP_1) | instskip(NEXT) | instid1(VALU_DEP_1)
	v_fma_f64 v[149:150], v[20:21], s[20:21], v[145:146]
	v_add_f64_e32 v[72:73], v[149:150], v[72:73]
	;; [unrolled: 4-line block ×17, first 2 shown]
	v_mul_f64_e32 v[181:182], s[44:45], v[26:27]
	v_mul_f64_e32 v[26:27], s[38:39], v[26:27]
	s_delay_alu instid0(VALU_DEP_2) | instskip(NEXT) | instid1(VALU_DEP_1)
	v_fma_f64 v[183:184], v[24:25], s[2:3], v[181:182]
	v_add_f64_e32 v[66:67], v[183:184], v[66:67]
	v_mul_f64_e32 v[183:184], s[38:39], v[106:107]
	s_delay_alu instid0(VALU_DEP_1) | instskip(NEXT) | instid1(VALU_DEP_1)
	v_fma_f64 v[185:186], v[30:31], s[20:21], v[183:184]
	v_add_f64_e32 v[64:65], v[185:186], v[64:65]
	v_mul_f64_e32 v[185:186], s[46:47], v[106:107]
	s_delay_alu instid0(VALU_DEP_1) | instskip(NEXT) | instid1(VALU_DEP_1)
	;; [unrolled: 4-line block ×10, first 2 shown]
	v_fma_f64 v[203:204], v[58:59], s[16:17], v[201:202]
	v_add_f64_e32 v[66:67], v[203:204], v[66:67]
	ds_store_2addr_b64 v130, v[70:71], v[72:73] offset0:4 offset1:5
	ds_store_2addr_b64 v130, v[64:65], v[66:67] offset0:6 offset1:7
	v_mul_f64_e32 v[64:65], s[36:37], v[118:119]
	s_delay_alu instid0(VALU_DEP_1) | instskip(SKIP_1) | instid1(VALU_DEP_2)
	v_fma_f64 v[66:67], v[20:21], s[14:15], v[64:65]
	v_fma_f64 v[64:65], v[20:21], s[14:15], -v[64:65]
	v_add_f64_e32 v[62:63], v[66:67], v[62:63]
	s_delay_alu instid0(VALU_DEP_2) | instskip(SKIP_2) | instid1(VALU_DEP_2)
	v_add_f64_e32 v[28:29], v[64:65], v[28:29]
	v_fma_f64 v[64:65], v[24:25], s[20:21], v[26:27]
	v_fma_f64 v[26:27], v[24:25], s[20:21], -v[26:27]
	v_add_f64_e32 v[62:63], v[64:65], v[62:63]
	s_delay_alu instid0(VALU_DEP_2) | instskip(SKIP_1) | instid1(VALU_DEP_1)
	v_add_f64_e32 v[26:27], v[26:27], v[28:29]
	v_mul_f64_e32 v[28:29], s[28:29], v[106:107]
	v_fma_f64 v[64:65], v[30:31], s[12:13], v[28:29]
	v_fma_f64 v[28:29], v[30:31], s[12:13], -v[28:29]
	s_delay_alu instid0(VALU_DEP_2) | instskip(NEXT) | instid1(VALU_DEP_2)
	v_add_f64_e32 v[62:63], v[64:65], v[62:63]
	v_add_f64_e32 v[26:27], v[28:29], v[26:27]
	v_mul_f64_e32 v[28:29], s[34:35], v[36:37]
	s_delay_alu instid0(VALU_DEP_1) | instskip(SKIP_1) | instid1(VALU_DEP_2)
	v_fma_f64 v[36:37], v[42:43], s[18:19], v[28:29]
	v_fma_f64 v[28:29], v[42:43], s[18:19], -v[28:29]
	v_add_f64_e32 v[36:37], v[36:37], v[62:63]
	s_delay_alu instid0(VALU_DEP_2) | instskip(SKIP_1) | instid1(VALU_DEP_1)
	v_add_f64_e32 v[26:27], v[28:29], v[26:27]
	v_mul_f64_e32 v[28:29], s[24:25], v[40:41]
	v_fma_f64 v[40:41], v[44:45], s[6:7], v[28:29]
	v_fma_f64 v[28:29], v[44:45], s[6:7], -v[28:29]
	s_delay_alu instid0(VALU_DEP_2) | instskip(NEXT) | instid1(VALU_DEP_2)
	v_add_f64_e32 v[36:37], v[40:41], v[36:37]
	v_add_f64_e32 v[26:27], v[28:29], v[26:27]
	v_mul_f64_e32 v[28:29], s[30:31], v[54:55]
	s_delay_alu instid0(VALU_DEP_1) | instskip(SKIP_1) | instid1(VALU_DEP_2)
	v_fma_f64 v[40:41], v[52:53], s[16:17], v[28:29]
	v_fma_f64 v[28:29], v[52:53], s[16:17], -v[28:29]
	v_add_f64_e32 v[36:37], v[40:41], v[36:37]
	s_delay_alu instid0(VALU_DEP_2) | instskip(SKIP_1) | instid1(VALU_DEP_1)
	v_add_f64_e32 v[26:27], v[28:29], v[26:27]
	v_mul_f64_e32 v[28:29], s[26:27], v[56:57]
	v_fma_f64 v[40:41], v[58:59], s[2:3], v[28:29]
	v_fma_f64 v[28:29], v[58:59], s[2:3], -v[28:29]
	s_delay_alu instid0(VALU_DEP_2) | instskip(NEXT) | instid1(VALU_DEP_2)
	v_add_f64_e32 v[36:37], v[40:41], v[36:37]
	v_add_f64_e32 v[26:27], v[28:29], v[26:27]
	v_fma_f64 v[28:29], v[20:21], s[16:17], -v[175:176]
	v_fma_f64 v[40:41], v[20:21], s[6:7], -v[177:178]
	s_delay_alu instid0(VALU_DEP_2) | instskip(SKIP_1) | instid1(VALU_DEP_3)
	v_add_f64_e32 v[28:29], v[28:29], v[50:51]
	v_fma_f64 v[50:51], v[24:25], s[14:15], -v[179:180]
	v_add_f64_e32 v[40:41], v[40:41], v[60:61]
	s_delay_alu instid0(VALU_DEP_2) | instskip(SKIP_1) | instid1(VALU_DEP_1)
	v_add_f64_e32 v[28:29], v[50:51], v[28:29]
	v_fma_f64 v[50:51], v[24:25], s[2:3], -v[181:182]
	v_add_f64_e32 v[40:41], v[50:51], v[40:41]
	v_fma_f64 v[50:51], v[30:31], s[20:21], -v[183:184]
	s_delay_alu instid0(VALU_DEP_1) | instskip(SKIP_1) | instid1(VALU_DEP_1)
	v_add_f64_e32 v[28:29], v[50:51], v[28:29]
	v_fma_f64 v[50:51], v[30:31], s[18:19], -v[185:186]
	v_add_f64_e32 v[40:41], v[50:51], v[40:41]
	v_fma_f64 v[50:51], v[42:43], s[2:3], -v[187:188]
	s_delay_alu instid0(VALU_DEP_1) | instskip(SKIP_1) | instid1(VALU_DEP_1)
	;; [unrolled: 5-line block ×5, first 2 shown]
	v_add_f64_e32 v[28:29], v[50:51], v[28:29]
	v_fma_f64 v[50:51], v[58:59], s[16:17], -v[201:202]
	v_add_f64_e32 v[40:41], v[50:51], v[40:41]
	ds_store_2addr_b64 v130, v[36:37], v[26:27] offset0:8 offset1:9
	ds_store_2addr_b64 v130, v[40:41], v[28:29] offset0:10 offset1:11
	v_fma_f64 v[26:27], v[20:21], s[22:23], -v[143:144]
	v_fma_f64 v[28:29], v[20:21], s[20:21], -v[145:146]
	;; [unrolled: 1-line block ×3, first 2 shown]
	s_delay_alu instid0(VALU_DEP_3) | instskip(NEXT) | instid1(VALU_DEP_3)
	v_add_f64_e32 v[26:27], v[26:27], v[46:47]
	v_add_f64_e32 v[28:29], v[28:29], v[48:49]
	s_delay_alu instid0(VALU_DEP_2) | instskip(SKIP_1) | instid1(VALU_DEP_1)
	v_add_f64_e32 v[26:27], v[36:37], v[26:27]
	v_fma_f64 v[36:37], v[24:25], s[12:13], -v[153:154]
	v_add_f64_e32 v[28:29], v[36:37], v[28:29]
	v_fma_f64 v[36:37], v[30:31], s[14:15], -v[155:156]
	s_delay_alu instid0(VALU_DEP_1) | instskip(SKIP_1) | instid1(VALU_DEP_1)
	v_add_f64_e32 v[26:27], v[36:37], v[26:27]
	v_fma_f64 v[36:37], v[30:31], s[6:7], -v[157:158]
	v_add_f64_e32 v[28:29], v[36:37], v[28:29]
	v_fma_f64 v[36:37], v[42:43], s[6:7], -v[159:160]
	s_delay_alu instid0(VALU_DEP_1) | instskip(SKIP_1) | instid1(VALU_DEP_1)
	;; [unrolled: 5-line block ×5, first 2 shown]
	v_add_f64_e32 v[26:27], v[36:37], v[26:27]
	v_fma_f64 v[36:37], v[58:59], s[18:19], -v[173:174]
	v_add_f64_e32 v[28:29], v[36:37], v[28:29]
	v_fma_f64 v[36:37], v[20:21], s[2:3], -v[80:81]
	s_delay_alu instid0(VALU_DEP_1) | instskip(SKIP_2) | instid1(VALU_DEP_2)
	v_add_f64_e32 v[34:35], v[36:37], v[34:35]
	v_fma_f64 v[36:37], v[20:21], s[18:19], -v[82:83]
	v_fma_f64 v[20:21], v[20:21], s[12:13], -v[78:79]
	v_add_f64_e32 v[36:37], v[36:37], v[38:39]
	v_fma_f64 v[38:39], v[24:25], s[18:19], -v[98:99]
	s_delay_alu instid0(VALU_DEP_3) | instskip(NEXT) | instid1(VALU_DEP_2)
	v_add_f64_e32 v[20:21], v[20:21], v[32:33]
	v_add_f64_e32 v[34:35], v[38:39], v[34:35]
	v_fma_f64 v[38:39], v[24:25], s[22:23], -v[100:101]
	v_fma_f64 v[23:24], v[24:25], s[6:7], -v[96:97]
	s_delay_alu instid0(VALU_DEP_2) | instskip(SKIP_1) | instid1(VALU_DEP_3)
	v_add_f64_e32 v[36:37], v[38:39], v[36:37]
	v_fma_f64 v[38:39], v[30:31], s[22:23], -v[112:113]
	v_add_f64_e32 v[20:21], v[23:24], v[20:21]
	v_fma_f64 v[23:24], v[42:43], s[16:17], -v[116:117]
	s_delay_alu instid0(VALU_DEP_3) | instskip(SKIP_1) | instid1(VALU_DEP_1)
	v_add_f64_e32 v[34:35], v[38:39], v[34:35]
	v_fma_f64 v[38:39], v[30:31], s[16:17], -v[114:115]
	v_add_f64_e32 v[36:37], v[38:39], v[36:37]
	v_fma_f64 v[38:39], v[42:43], s[20:21], -v[120:121]
	s_delay_alu instid0(VALU_DEP_1) | instskip(SKIP_1) | instid1(VALU_DEP_1)
	v_add_f64_e32 v[34:35], v[38:39], v[34:35]
	v_fma_f64 v[38:39], v[42:43], s[12:13], -v[122:123]
	v_add_f64_e32 v[36:37], v[38:39], v[36:37]
	v_fma_f64 v[38:39], v[44:45], s[16:17], -v[131:132]
	s_delay_alu instid0(VALU_DEP_1) | instskip(SKIP_1) | instid1(VALU_DEP_1)
	;; [unrolled: 5-line block ×4, first 2 shown]
	v_add_f64_e32 v[34:35], v[38:39], v[34:35]
	v_fma_f64 v[38:39], v[58:59], s[20:21], -v[151:152]
	v_add_f64_e32 v[36:37], v[38:39], v[36:37]
	ds_store_2addr_b64 v130, v[28:29], v[26:27] offset0:12 offset1:13
	ds_store_2addr_b64 v130, v[36:37], v[34:35] offset0:14 offset1:15
	v_fma_f64 v[25:26], v[30:31], s[2:3], -v[102:103]
	s_delay_alu instid0(VALU_DEP_1) | instskip(NEXT) | instid1(VALU_DEP_1)
	v_add_f64_e32 v[20:21], v[25:26], v[20:21]
	v_add_f64_e32 v[20:21], v[23:24], v[20:21]
	v_fma_f64 v[23:24], v[44:45], s[18:19], -v[124:125]
	s_delay_alu instid0(VALU_DEP_1) | instskip(SKIP_1) | instid1(VALU_DEP_1)
	v_add_f64_e32 v[20:21], v[23:24], v[20:21]
	v_fma_f64 v[23:24], v[52:53], s[20:21], -v[135:136]
	v_add_f64_e32 v[20:21], v[23:24], v[20:21]
	v_fma_f64 v[23:24], v[58:59], s[22:23], -v[141:142]
	s_delay_alu instid0(VALU_DEP_1)
	v_add_f64_e32 v[20:21], v[23:24], v[20:21]
	ds_store_b64 v130, v[20:21] offset:128
	v_and_b32_e32 v20, 0xff, v126
	global_wb scope:SCOPE_SE
	s_wait_dscnt 0x0
	s_barrier_signal -1
	s_barrier_wait -1
	global_inv scope:SCOPE_SE
	v_mul_lo_u16 v20, 0xf1, v20
	s_delay_alu instid0(VALU_DEP_1) | instskip(NEXT) | instid1(VALU_DEP_1)
	v_lshrrev_b16 v40, 12, v20
	v_mul_lo_u16 v20, v40, 17
	v_and_b32_e32 v40, 0xffff, v40
	s_delay_alu instid0(VALU_DEP_2) | instskip(NEXT) | instid1(VALU_DEP_2)
	v_sub_nc_u16 v20, v126, v20
	v_mul_u32_u24_e32 v40, 0x908, v40
	s_delay_alu instid0(VALU_DEP_2) | instskip(NEXT) | instid1(VALU_DEP_1)
	v_and_b32_e32 v41, 0xff, v20
	v_lshlrev_b32_e32 v50, 8, v41
	s_clause 0x1
	global_load_b128 v[23:26], v50, s[4:5] offset:32
	global_load_b128 v[27:30], v50, s[4:5] offset:48
	ds_load_2addr_b64 v[31:34], v19 offset0:50 offset1:152
	v_lshlrev_b32_e32 v41, 3, v41
	s_wait_loadcnt_dscnt 0x100
	v_mul_f64_e32 v[20:21], v[31:32], v[25:26]
	s_delay_alu instid0(VALU_DEP_1) | instskip(SKIP_1) | instid1(VALU_DEP_1)
	v_fma_f64 v[82:83], v[74:75], v[23:24], -v[20:21]
	v_mul_f64_e32 v[20:21], v[74:75], v[25:26]
	v_fma_f64 v[74:75], v[31:32], v[23:24], v[20:21]
	s_wait_loadcnt 0x0
	v_mul_f64_e32 v[20:21], v[33:34], v[29:30]
	ds_load_2addr_b64 v[23:26], v205 offset0:126 offset1:228
	v_fma_f64 v[78:79], v[76:77], v[27:28], -v[20:21]
	v_mul_f64_e32 v[20:21], v[76:77], v[29:30]
	s_delay_alu instid0(VALU_DEP_1)
	v_fma_f64 v[76:77], v[33:34], v[27:28], v[20:21]
	s_clause 0x1
	global_load_b128 v[27:30], v50, s[4:5] offset:64
	global_load_b128 v[31:34], v50, s[4:5] offset:80
	s_wait_loadcnt_dscnt 0x100
	v_mul_f64_e32 v[20:21], v[23:24], v[29:30]
	s_delay_alu instid0(VALU_DEP_1) | instskip(SKIP_1) | instid1(VALU_DEP_1)
	v_fma_f64 v[66:67], v[84:85], v[27:28], -v[20:21]
	v_mul_f64_e32 v[20:21], v[84:85], v[29:30]
	v_fma_f64 v[70:71], v[23:24], v[27:28], v[20:21]
	s_wait_loadcnt 0x0
	v_mul_f64_e32 v[20:21], v[25:26], v[33:34]
	s_delay_alu instid0(VALU_DEP_1) | instskip(SKIP_1) | instid1(VALU_DEP_1)
	v_fma_f64 v[62:63], v[86:87], v[31:32], -v[20:21]
	v_mul_f64_e32 v[20:21], v[86:87], v[33:34]
	v_fma_f64 v[64:65], v[25:26], v[31:32], v[20:21]
	ds_load_2addr_b64 v[23:26], v206 offset0:74 offset1:176
	s_clause 0x1
	global_load_b128 v[27:30], v50, s[4:5] offset:96
	global_load_b128 v[31:34], v50, s[4:5] offset:112
	s_wait_loadcnt_dscnt 0x100
	v_mul_f64_e32 v[20:21], v[23:24], v[29:30]
	s_delay_alu instid0(VALU_DEP_1) | instskip(SKIP_1) | instid1(VALU_DEP_1)
	v_fma_f64 v[56:57], v[88:89], v[27:28], -v[20:21]
	v_mul_f64_e32 v[20:21], v[88:89], v[29:30]
	v_fma_f64 v[36:37], v[23:24], v[27:28], v[20:21]
	s_wait_loadcnt 0x0
	v_mul_f64_e32 v[20:21], v[25:26], v[33:34]
	s_delay_alu instid0(VALU_DEP_1) | instskip(SKIP_1) | instid1(VALU_DEP_1)
	v_fma_f64 v[58:59], v[90:91], v[31:32], -v[20:21]
	v_mul_f64_e32 v[20:21], v[90:91], v[33:34]
	v_fma_f64 v[38:39], v[25:26], v[31:32], v[20:21]
	s_clause 0x1
	global_load_b128 v[23:26], v50, s[4:5] offset:128
	global_load_b128 v[27:30], v50, s[4:5] offset:144
	ds_load_2addr_b64 v[42:45], v108 offset0:150 offset1:252
	s_wait_loadcnt_dscnt 0x100
	v_mul_f64_e32 v[20:21], v[42:43], v[25:26]
	s_delay_alu instid0(VALU_DEP_1) | instskip(SKIP_1) | instid1(VALU_DEP_2)
	v_fma_f64 v[60:61], v[92:93], v[23:24], -v[20:21]
	v_mul_f64_e32 v[20:21], v[92:93], v[25:26]
	v_add_f64_e32 v[149:150], v[58:59], v[60:61]
	s_delay_alu instid0(VALU_DEP_2) | instskip(SKIP_2) | instid1(VALU_DEP_2)
	v_fma_f64 v[34:35], v[42:43], v[23:24], v[20:21]
	s_wait_loadcnt 0x0
	v_mul_f64_e32 v[20:21], v[44:45], v[29:30]
	v_add_f64_e64 v[147:148], v[38:39], -v[34:35]
	s_delay_alu instid0(VALU_DEP_2) | instskip(SKIP_1) | instid1(VALU_DEP_3)
	v_fma_f64 v[72:73], v[94:95], v[27:28], -v[20:21]
	v_mul_f64_e32 v[20:21], v[94:95], v[29:30]
	v_mul_f64_e32 v[151:152], s[36:37], v[147:148]
	s_delay_alu instid0(VALU_DEP_3) | instskip(NEXT) | instid1(VALU_DEP_3)
	v_add_f64_e32 v[141:142], v[56:57], v[72:73]
	v_fma_f64 v[32:33], v[44:45], v[27:28], v[20:21]
	s_clause 0x1
	global_load_b128 v[23:26], v50, s[4:5] offset:160
	global_load_b128 v[42:45], v50, s[4:5] offset:176
	ds_load_2addr_b64 v[46:49], v109 offset0:98 offset1:200
	v_mul_f64_e32 v[153:154], s[38:39], v[147:148]
	v_add_f64_e64 v[139:140], v[36:37], -v[32:33]
	s_delay_alu instid0(VALU_DEP_1) | instskip(SKIP_3) | instid1(VALU_DEP_1)
	v_mul_f64_e32 v[143:144], s[24:25], v[139:140]
	v_mul_f64_e32 v[145:146], s[44:45], v[139:140]
	s_wait_loadcnt_dscnt 0x100
	v_mul_f64_e32 v[20:21], v[46:47], v[25:26]
	v_fma_f64 v[80:81], v[8:9], v[23:24], -v[20:21]
	v_mul_f64_e32 v[8:9], v[8:9], v[25:26]
	s_delay_alu instid0(VALU_DEP_2) | instskip(NEXT) | instid1(VALU_DEP_2)
	v_add_f64_e32 v[133:134], v[62:63], v[80:81]
	v_fma_f64 v[30:31], v[46:47], v[23:24], v[8:9]
	s_wait_loadcnt 0x0
	v_mul_f64_e32 v[8:9], v[48:49], v[44:45]
	s_delay_alu instid0(VALU_DEP_2) | instskip(NEXT) | instid1(VALU_DEP_2)
	v_add_f64_e64 v[131:132], v[64:65], -v[30:31]
	v_fma_f64 v[84:85], v[10:11], v[42:43], -v[8:9]
	v_mul_f64_e32 v[8:9], v[10:11], v[44:45]
	s_delay_alu instid0(VALU_DEP_3) | instskip(NEXT) | instid1(VALU_DEP_3)
	v_mul_f64_e32 v[135:136], s[50:51], v[131:132]
	v_add_f64_e32 v[120:121], v[66:67], v[84:85]
	s_delay_alu instid0(VALU_DEP_3)
	v_fma_f64 v[28:29], v[48:49], v[42:43], v[8:9]
	ds_load_2addr_b64 v[8:11], v22 offset0:46 offset1:148
	s_clause 0x1
	global_load_b128 v[20:23], v50, s[4:5] offset:192
	global_load_b128 v[42:45], v50, s[4:5] offset:208
	v_mul_f64_e32 v[137:138], s[42:43], v[131:132]
	v_add_f64_e64 v[118:119], v[70:71], -v[28:29]
	s_delay_alu instid0(VALU_DEP_1) | instskip(SKIP_3) | instid1(VALU_DEP_1)
	v_mul_f64_e32 v[122:123], s[54:55], v[118:119]
	v_mul_f64_e32 v[124:125], s[28:29], v[118:119]
	s_wait_loadcnt_dscnt 0x100
	v_mul_f64_e32 v[24:25], v[8:9], v[22:23]
	v_fma_f64 v[86:87], v[4:5], v[20:21], -v[24:25]
	v_mul_f64_e32 v[4:5], v[4:5], v[22:23]
	s_delay_alu instid0(VALU_DEP_2) | instskip(NEXT) | instid1(VALU_DEP_2)
	v_add_f64_e32 v[112:113], v[78:79], v[86:87]
	v_fma_f64 v[26:27], v[8:9], v[20:21], v[4:5]
	s_wait_loadcnt 0x0
	v_mul_f64_e32 v[4:5], v[10:11], v[44:45]
	s_delay_alu instid0(VALU_DEP_1) | instskip(SKIP_1) | instid1(VALU_DEP_2)
	v_fma_f64 v[88:89], v[6:7], v[42:43], -v[4:5]
	v_mul_f64_e32 v[4:5], v[6:7], v[44:45]
	v_add_f64_e32 v[48:49], v[82:83], v[88:89]
	s_delay_alu instid0(VALU_DEP_2)
	v_fma_f64 v[24:25], v[10:11], v[42:43], v[4:5]
	s_clause 0x1
	global_load_b128 v[4:7], v50, s[4:5] offset:224
	global_load_b128 v[8:11], v50, s[4:5] offset:240
	ds_load_2addr_b64 v[42:45], v110 offset0:122 offset1:224
	s_wait_loadcnt_dscnt 0x100
	v_mul_f64_e32 v[20:21], v[42:43], v[6:7]
	s_delay_alu instid0(VALU_DEP_1) | instskip(SKIP_1) | instid1(VALU_DEP_1)
	v_fma_f64 v[90:91], v[0:1], v[4:5], -v[20:21]
	v_mul_f64_e32 v[0:1], v[0:1], v[6:7]
	v_fma_f64 v[22:23], v[42:43], v[4:5], v[0:1]
	s_wait_loadcnt 0x0
	v_mul_f64_e32 v[0:1], v[44:45], v[10:11]
	s_delay_alu instid0(VALU_DEP_1) | instskip(SKIP_1) | instid1(VALU_DEP_1)
	v_fma_f64 v[92:93], v[2:3], v[8:9], -v[0:1]
	v_mul_f64_e32 v[0:1], v[2:3], v[10:11]
	v_fma_f64 v[20:21], v[44:45], v[8:9], v[0:1]
	s_clause 0x1
	global_load_b128 v[0:3], v50, s[4:5]
	global_load_b128 v[4:7], v50, s[4:5] offset:16
	ds_load_b64 v[10:11], v105
	ds_load_b64 v[42:43], v104
	;; [unrolled: 1-line block ×3, first 2 shown]
	global_wb scope:SCOPE_SE
	s_wait_loadcnt_dscnt 0x0
	s_barrier_signal -1
	s_barrier_wait -1
	global_inv scope:SCOPE_SE
	v_mul_f64_e32 v[8:9], v[16:17], v[2:3]
	v_mul_f64_e32 v[2:3], v[10:11], v[2:3]
	s_delay_alu instid0(VALU_DEP_2) | instskip(NEXT) | instid1(VALU_DEP_2)
	v_fma_f64 v[96:97], v[10:11], v[0:1], v[8:9]
	v_fma_f64 v[102:103], v[16:17], v[0:1], -v[2:3]
	v_mul_f64_e32 v[0:1], v[14:15], v[6:7]
	s_delay_alu instid0(VALU_DEP_2) | instskip(NEXT) | instid1(VALU_DEP_2)
	v_add_f64_e32 v[2:3], v[102:103], v[92:93]
	v_fma_f64 v[98:99], v[42:43], v[4:5], v[0:1]
	v_mul_f64_e32 v[0:1], v[42:43], v[6:7]
	s_delay_alu instid0(VALU_DEP_2) | instskip(NEXT) | instid1(VALU_DEP_2)
	v_add_f64_e64 v[8:9], v[98:99], -v[22:23]
	v_fma_f64 v[100:101], v[14:15], v[4:5], -v[0:1]
	v_add_f64_e64 v[0:1], v[96:97], -v[20:21]
	s_delay_alu instid0(VALU_DEP_3) | instskip(NEXT) | instid1(VALU_DEP_3)
	v_mul_f64_e32 v[14:15], s[44:45], v[8:9]
	v_add_f64_e32 v[10:11], v[100:101], v[90:91]
	s_delay_alu instid0(VALU_DEP_3)
	v_mul_f64_e32 v[4:5], s[48:49], v[0:1]
	v_mul_f64_e32 v[44:45], s[34:35], v[8:9]
	;; [unrolled: 1-line block ×4, first 2 shown]
	v_fma_f64 v[16:17], v[10:11], s[2:3], -v[14:15]
	v_fma_f64 v[6:7], v[2:3], s[12:13], -v[4:5]
	;; [unrolled: 1-line block ×5, first 2 shown]
	v_fma_f64 v[4:5], v[2:3], s[12:13], v[4:5]
	v_add_f64_e32 v[6:7], v[12:13], v[6:7]
	s_delay_alu instid0(VALU_DEP_2) | instskip(NEXT) | instid1(VALU_DEP_2)
	v_add_f64_e32 v[4:5], v[12:13], v[4:5]
	v_add_f64_e32 v[6:7], v[16:17], v[6:7]
	v_mul_f64_e32 v[16:17], s[52:53], v[0:1]
	s_delay_alu instid0(VALU_DEP_1) | instskip(SKIP_1) | instid1(VALU_DEP_2)
	v_fma_f64 v[42:43], v[2:3], s[6:7], -v[16:17]
	v_fma_f64 v[16:17], v[2:3], s[6:7], v[16:17]
	v_add_f64_e32 v[42:43], v[12:13], v[42:43]
	s_delay_alu instid0(VALU_DEP_2) | instskip(NEXT) | instid1(VALU_DEP_2)
	v_add_f64_e32 v[16:17], v[12:13], v[16:17]
	v_add_f64_e32 v[42:43], v[46:47], v[42:43]
	v_add_f64_e64 v[46:47], v[74:75], -v[24:25]
	s_delay_alu instid0(VALU_DEP_1) | instskip(NEXT) | instid1(VALU_DEP_1)
	v_mul_f64_e32 v[50:51], s[34:35], v[46:47]
	v_fma_f64 v[52:53], v[48:49], s[18:19], -v[50:51]
	s_delay_alu instid0(VALU_DEP_1) | instskip(SKIP_1) | instid1(VALU_DEP_1)
	v_add_f64_e32 v[6:7], v[52:53], v[6:7]
	v_mul_f64_e32 v[52:53], s[56:57], v[46:47]
	v_fma_f64 v[54:55], v[48:49], s[22:23], -v[52:53]
	s_delay_alu instid0(VALU_DEP_1) | instskip(SKIP_1) | instid1(VALU_DEP_1)
	v_add_f64_e32 v[42:43], v[54:55], v[42:43]
	v_add_f64_e64 v[54:55], v[76:77], -v[26:27]
	v_mul_f64_e32 v[114:115], s[40:41], v[54:55]
	v_mul_f64_e32 v[116:117], s[50:51], v[54:55]
	s_delay_alu instid0(VALU_DEP_2) | instskip(NEXT) | instid1(VALU_DEP_1)
	v_fma_f64 v[106:107], v[112:113], s[22:23], -v[114:115]
	v_add_f64_e32 v[6:7], v[106:107], v[6:7]
	s_delay_alu instid0(VALU_DEP_3) | instskip(NEXT) | instid1(VALU_DEP_1)
	v_fma_f64 v[106:107], v[112:113], s[16:17], -v[116:117]
	v_add_f64_e32 v[42:43], v[106:107], v[42:43]
	v_fma_f64 v[106:107], v[120:121], s[20:21], -v[122:123]
	s_delay_alu instid0(VALU_DEP_1) | instskip(SKIP_1) | instid1(VALU_DEP_1)
	v_add_f64_e32 v[6:7], v[106:107], v[6:7]
	v_fma_f64 v[106:107], v[120:121], s[12:13], -v[124:125]
	v_add_f64_e32 v[42:43], v[106:107], v[42:43]
	v_fma_f64 v[106:107], v[133:134], s[16:17], -v[135:136]
	s_delay_alu instid0(VALU_DEP_1) | instskip(SKIP_1) | instid1(VALU_DEP_1)
	v_add_f64_e32 v[6:7], v[106:107], v[6:7]
	;; [unrolled: 5-line block ×4, first 2 shown]
	v_fma_f64 v[106:107], v[149:150], s[20:21], -v[153:154]
	v_add_f64_e32 v[42:43], v[106:107], v[42:43]
	v_add3_u32 v106, 0, v40, v41
	ds_store_2addr_b64 v106, v[6:7], v[42:43] offset0:34 offset1:51
	v_mul_f64_e32 v[6:7], s[44:45], v[0:1]
	v_mul_f64_e32 v[42:43], s[40:41], v[8:9]
	s_delay_alu instid0(VALU_DEP_2) | instskip(NEXT) | instid1(VALU_DEP_2)
	v_fma_f64 v[40:41], v[2:3], s[2:3], -v[6:7]
	v_fma_f64 v[155:156], v[10:11], s[22:23], -v[42:43]
	v_fma_f64 v[6:7], v[2:3], s[2:3], v[6:7]
	v_fma_f64 v[42:43], v[10:11], s[22:23], v[42:43]
	s_delay_alu instid0(VALU_DEP_4) | instskip(NEXT) | instid1(VALU_DEP_3)
	v_add_f64_e32 v[40:41], v[12:13], v[40:41]
	v_add_f64_e32 v[6:7], v[12:13], v[6:7]
	s_delay_alu instid0(VALU_DEP_2) | instskip(SKIP_1) | instid1(VALU_DEP_3)
	v_add_f64_e32 v[40:41], v[155:156], v[40:41]
	v_mul_f64_e32 v[155:156], s[30:31], v[0:1]
	v_add_f64_e32 v[6:7], v[42:43], v[6:7]
	s_delay_alu instid0(VALU_DEP_2) | instskip(NEXT) | instid1(VALU_DEP_1)
	v_fma_f64 v[157:158], v[2:3], s[16:17], -v[155:156]
	v_add_f64_e32 v[157:158], v[12:13], v[157:158]
	s_delay_alu instid0(VALU_DEP_1) | instskip(SKIP_1) | instid1(VALU_DEP_1)
	v_add_f64_e32 v[157:158], v[161:162], v[157:158]
	v_mul_f64_e32 v[161:162], s[50:51], v[46:47]
	v_fma_f64 v[163:164], v[48:49], s[16:17], -v[161:162]
	s_delay_alu instid0(VALU_DEP_1) | instskip(SKIP_1) | instid1(VALU_DEP_1)
	v_add_f64_e32 v[40:41], v[163:164], v[40:41]
	v_mul_f64_e32 v[163:164], s[28:29], v[46:47]
	v_fma_f64 v[165:166], v[48:49], s[12:13], -v[163:164]
	;; [unrolled: 4-line block ×4, first 2 shown]
	v_fma_f64 v[42:43], v[112:113], s[6:7], v[167:168]
	s_delay_alu instid0(VALU_DEP_2) | instskip(SKIP_1) | instid1(VALU_DEP_1)
	v_add_f64_e32 v[157:158], v[169:170], v[157:158]
	v_mul_f64_e32 v[169:170], s[52:53], v[118:119]
	v_fma_f64 v[171:172], v[120:121], s[6:7], -v[169:170]
	s_delay_alu instid0(VALU_DEP_1) | instskip(SKIP_1) | instid1(VALU_DEP_1)
	v_add_f64_e32 v[40:41], v[171:172], v[40:41]
	v_mul_f64_e32 v[171:172], s[40:41], v[118:119]
	v_fma_f64 v[173:174], v[120:121], s[22:23], -v[171:172]
	s_delay_alu instid0(VALU_DEP_1) | instskip(SKIP_1) | instid1(VALU_DEP_1)
	;; [unrolled: 4-line block ×7, first 2 shown]
	v_add_f64_e32 v[40:41], v[183:184], v[40:41]
	v_mul_f64_e32 v[183:184], s[34:35], v[147:148]
	v_fma_f64 v[185:186], v[149:150], s[18:19], -v[183:184]
	s_delay_alu instid0(VALU_DEP_1) | instskip(SKIP_4) | instid1(VALU_DEP_2)
	v_add_f64_e32 v[157:158], v[185:186], v[157:158]
	v_mul_f64_e32 v[185:186], s[50:51], v[8:9]
	ds_store_2addr_b64 v106, v[40:41], v[157:158] offset0:68 offset1:85
	v_mul_f64_e32 v[40:41], s[34:35], v[0:1]
	v_fma_f64 v[187:188], v[10:11], s[16:17], -v[185:186]
	v_fma_f64 v[157:158], v[2:3], s[18:19], -v[40:41]
	v_fma_f64 v[40:41], v[2:3], s[18:19], v[40:41]
	s_delay_alu instid0(VALU_DEP_2) | instskip(NEXT) | instid1(VALU_DEP_2)
	v_add_f64_e32 v[157:158], v[12:13], v[157:158]
	v_add_f64_e32 v[40:41], v[12:13], v[40:41]
	s_delay_alu instid0(VALU_DEP_2) | instskip(SKIP_1) | instid1(VALU_DEP_1)
	v_add_f64_e32 v[157:158], v[187:188], v[157:158]
	v_mul_f64_e32 v[187:188], s[38:39], v[0:1]
	v_fma_f64 v[189:190], v[2:3], s[20:21], -v[187:188]
	s_delay_alu instid0(VALU_DEP_1) | instskip(NEXT) | instid1(VALU_DEP_1)
	v_add_f64_e32 v[189:190], v[12:13], v[189:190]
	v_add_f64_e32 v[189:190], v[193:194], v[189:190]
	v_mul_f64_e32 v[193:194], s[42:43], v[46:47]
	s_delay_alu instid0(VALU_DEP_1) | instskip(NEXT) | instid1(VALU_DEP_1)
	v_fma_f64 v[195:196], v[48:49], s[14:15], -v[193:194]
	v_add_f64_e32 v[157:158], v[195:196], v[157:158]
	v_mul_f64_e32 v[195:196], s[44:45], v[46:47]
	s_delay_alu instid0(VALU_DEP_1) | instskip(NEXT) | instid1(VALU_DEP_1)
	v_fma_f64 v[197:198], v[48:49], s[2:3], -v[195:196]
	;; [unrolled: 4-line block ×12, first 2 shown]
	v_add_f64_e32 v[189:190], v[217:218], v[189:190]
	v_mul_f64_e32 v[217:218], s[36:37], v[8:9]
	v_mul_f64_e32 v[8:9], s[48:49], v[8:9]
	ds_store_2addr_b64 v106, v[157:158], v[189:190] offset0:102 offset1:119
	v_mul_f64_e32 v[157:158], s[40:41], v[0:1]
	v_fma_f64 v[219:220], v[10:11], s[14:15], -v[217:218]
	v_fma_f64 v[217:218], v[10:11], s[14:15], v[217:218]
	v_mul_f64_e32 v[0:1], s[42:43], v[0:1]
	s_delay_alu instid0(VALU_DEP_4) | instskip(SKIP_1) | instid1(VALU_DEP_2)
	v_fma_f64 v[189:190], v[2:3], s[22:23], -v[157:158]
	v_fma_f64 v[157:158], v[2:3], s[22:23], v[157:158]
	v_add_f64_e32 v[189:190], v[12:13], v[189:190]
	s_delay_alu instid0(VALU_DEP_2) | instskip(NEXT) | instid1(VALU_DEP_2)
	v_add_f64_e32 v[157:158], v[12:13], v[157:158]
	v_add_f64_e32 v[189:190], v[219:220], v[189:190]
	s_delay_alu instid0(VALU_DEP_2) | instskip(SKIP_2) | instid1(VALU_DEP_2)
	v_add_f64_e32 v[157:158], v[217:218], v[157:158]
	v_mul_f64_e32 v[217:218], s[38:39], v[46:47]
	v_mul_f64_e32 v[46:47], s[52:53], v[46:47]
	v_fma_f64 v[219:220], v[48:49], s[20:21], -v[217:218]
	v_fma_f64 v[217:218], v[48:49], s[20:21], v[217:218]
	s_delay_alu instid0(VALU_DEP_2) | instskip(NEXT) | instid1(VALU_DEP_2)
	v_add_f64_e32 v[189:190], v[219:220], v[189:190]
	v_add_f64_e32 v[157:158], v[217:218], v[157:158]
	v_mul_f64_e32 v[217:218], s[28:29], v[54:55]
	v_mul_f64_e32 v[54:55], s[44:45], v[54:55]
	s_delay_alu instid0(VALU_DEP_2) | instskip(SKIP_1) | instid1(VALU_DEP_2)
	v_fma_f64 v[219:220], v[112:113], s[12:13], -v[217:218]
	v_fma_f64 v[217:218], v[112:113], s[12:13], v[217:218]
	v_add_f64_e32 v[189:190], v[219:220], v[189:190]
	s_delay_alu instid0(VALU_DEP_2) | instskip(SKIP_2) | instid1(VALU_DEP_2)
	v_add_f64_e32 v[157:158], v[217:218], v[157:158]
	v_mul_f64_e32 v[217:218], s[34:35], v[118:119]
	v_mul_f64_e32 v[118:119], s[30:31], v[118:119]
	v_fma_f64 v[219:220], v[120:121], s[18:19], -v[217:218]
	v_fma_f64 v[217:218], v[120:121], s[18:19], v[217:218]
	s_delay_alu instid0(VALU_DEP_2) | instskip(NEXT) | instid1(VALU_DEP_2)
	v_add_f64_e32 v[189:190], v[219:220], v[189:190]
	v_add_f64_e32 v[157:158], v[217:218], v[157:158]
	v_mul_f64_e32 v[217:218], s[24:25], v[131:132]
	v_mul_f64_e32 v[131:132], s[34:35], v[131:132]
	s_delay_alu instid0(VALU_DEP_2) | instskip(SKIP_1) | instid1(VALU_DEP_2)
	v_fma_f64 v[219:220], v[133:134], s[6:7], -v[217:218]
	v_fma_f64 v[217:218], v[133:134], s[6:7], v[217:218]
	;; [unrolled: 15-line block ×3, first 2 shown]
	v_add_f64_e32 v[189:190], v[219:220], v[189:190]
	s_delay_alu instid0(VALU_DEP_2) | instskip(SKIP_3) | instid1(VALU_DEP_2)
	v_add_f64_e32 v[157:158], v[217:218], v[157:158]
	ds_store_2addr_b64 v106, v[189:190], v[157:158] offset0:136 offset1:153
	v_fma_f64 v[157:158], v[10:11], s[16:17], v[185:186]
	v_fma_f64 v[185:186], v[10:11], s[6:7], v[191:192]
	v_add_f64_e32 v[40:41], v[157:158], v[40:41]
	v_fma_f64 v[157:158], v[2:3], s[20:21], v[187:188]
	s_delay_alu instid0(VALU_DEP_1) | instskip(NEXT) | instid1(VALU_DEP_1)
	v_add_f64_e32 v[157:158], v[12:13], v[157:158]
	v_add_f64_e32 v[157:158], v[185:186], v[157:158]
	v_fma_f64 v[185:186], v[48:49], s[14:15], v[193:194]
	s_delay_alu instid0(VALU_DEP_1) | instskip(SKIP_1) | instid1(VALU_DEP_1)
	v_add_f64_e32 v[40:41], v[185:186], v[40:41]
	v_fma_f64 v[185:186], v[48:49], s[2:3], v[195:196]
	v_add_f64_e32 v[157:158], v[185:186], v[157:158]
	v_fma_f64 v[185:186], v[112:113], s[20:21], v[197:198]
	s_delay_alu instid0(VALU_DEP_1) | instskip(SKIP_1) | instid1(VALU_DEP_1)
	v_add_f64_e32 v[40:41], v[185:186], v[40:41]
	v_fma_f64 v[185:186], v[112:113], s[18:19], v[199:200]
	;; [unrolled: 5-line block ×6, first 2 shown]
	v_add_f64_e32 v[157:158], v[185:186], v[157:158]
	ds_store_2addr_b64 v106, v[157:158], v[40:41] offset0:170 offset1:187
	v_fma_f64 v[40:41], v[2:3], s[14:15], -v[0:1]
	v_fma_f64 v[157:158], v[10:11], s[12:13], -v[8:9]
	v_fma_f64 v[0:1], v[2:3], s[14:15], v[0:1]
	s_delay_alu instid0(VALU_DEP_3) | instskip(NEXT) | instid1(VALU_DEP_2)
	v_add_f64_e32 v[40:41], v[12:13], v[40:41]
	v_add_f64_e32 v[0:1], v[12:13], v[0:1]
	s_delay_alu instid0(VALU_DEP_2) | instskip(SKIP_1) | instid1(VALU_DEP_1)
	v_add_f64_e32 v[40:41], v[157:158], v[40:41]
	v_fma_f64 v[157:158], v[48:49], s[6:7], -v[46:47]
	v_add_f64_e32 v[40:41], v[157:158], v[40:41]
	v_fma_f64 v[157:158], v[112:113], s[2:3], -v[54:55]
	s_delay_alu instid0(VALU_DEP_1) | instskip(SKIP_1) | instid1(VALU_DEP_1)
	v_add_f64_e32 v[40:41], v[157:158], v[40:41]
	v_fma_f64 v[157:158], v[120:121], s[16:17], -v[118:119]
	v_add_f64_e32 v[40:41], v[157:158], v[40:41]
	v_fma_f64 v[157:158], v[133:134], s[18:19], -v[131:132]
	s_delay_alu instid0(VALU_DEP_1) | instskip(SKIP_1) | instid1(VALU_DEP_1)
	;; [unrolled: 5-line block ×3, first 2 shown]
	v_add_f64_e32 v[40:41], v[157:158], v[40:41]
	v_add_f64_e32 v[157:158], v[12:13], v[102:103]
	;; [unrolled: 1-line block ×3, first 2 shown]
	s_delay_alu instid0(VALU_DEP_1) | instskip(NEXT) | instid1(VALU_DEP_1)
	v_add_f64_e32 v[157:158], v[157:158], v[82:83]
	v_add_f64_e32 v[157:158], v[157:158], v[78:79]
	s_delay_alu instid0(VALU_DEP_1) | instskip(NEXT) | instid1(VALU_DEP_1)
	v_add_f64_e32 v[157:158], v[157:158], v[66:67]
	v_add_f64_e32 v[157:158], v[157:158], v[62:63]
	;; [unrolled: 3-line block ×7, first 2 shown]
	ds_store_2addr_b64 v106, v[157:158], v[40:41] offset1:17
	v_fma_f64 v[40:41], v[2:3], s[16:17], v[155:156]
	v_fma_f64 v[2:3], v[10:11], s[12:13], v[8:9]
	;; [unrolled: 1-line block ×7, first 2 shown]
	v_add_f64_e32 v[40:41], v[12:13], v[40:41]
	v_fma_f64 v[12:13], v[48:49], s[6:7], v[46:47]
	v_fma_f64 v[46:47], v[48:49], s[22:23], v[52:53]
	;; [unrolled: 1-line block ×3, first 2 shown]
	v_add_f64_e32 v[4:5], v[8:9], v[4:5]
	v_add_f64_e32 v[0:1], v[2:3], v[0:1]
	;; [unrolled: 1-line block ×3, first 2 shown]
	v_fma_f64 v[2:3], v[112:113], s[2:3], v[54:55]
	v_fma_f64 v[50:51], v[120:121], s[22:23], v[171:172]
	v_add_f64_e32 v[8:9], v[10:11], v[40:41]
	v_add_f64_e32 v[10:11], v[14:15], v[16:17]
	v_fma_f64 v[40:41], v[112:113], s[14:15], v[165:166]
	v_fma_f64 v[14:15], v[112:113], s[22:23], v[114:115]
	;; [unrolled: 1-line block ×3, first 2 shown]
	v_add_f64_e32 v[4:5], v[44:45], v[4:5]
	v_add_f64_e32 v[0:1], v[12:13], v[0:1]
	v_fma_f64 v[44:45], v[120:121], s[20:21], v[122:123]
	v_fma_f64 v[12:13], v[120:121], s[16:17], v[118:119]
	v_add_f64_e32 v[8:9], v[48:49], v[8:9]
	v_add_f64_e32 v[10:11], v[46:47], v[10:11]
	v_fma_f64 v[48:49], v[120:121], s[6:7], v[169:170]
	v_add_f64_e32 v[6:7], v[40:41], v[6:7]
	v_fma_f64 v[46:47], v[120:121], s[12:13], v[124:125]
	v_add_f64_e32 v[4:5], v[14:15], v[4:5]
	v_add_f64_e32 v[0:1], v[2:3], v[0:1]
	v_fma_f64 v[40:41], v[133:134], s[20:21], v[173:174]
	v_fma_f64 v[14:15], v[133:134], s[16:17], v[135:136]
	v_fma_f64 v[2:3], v[133:134], s[18:19], v[131:132]
	v_add_f64_e32 v[8:9], v[42:43], v[8:9]
	v_add_f64_e32 v[10:11], v[16:17], v[10:11]
	v_fma_f64 v[42:43], v[133:134], s[2:3], v[175:176]
	v_add_f64_e32 v[6:7], v[48:49], v[6:7]
	v_fma_f64 v[16:17], v[133:134], s[14:15], v[137:138]
	v_add_f64_e32 v[4:5], v[44:45], v[4:5]
	v_add_f64_e32 v[0:1], v[12:13], v[0:1]
	v_fma_f64 v[48:49], v[141:142], s[18:19], v[177:178]
	;; [unrolled: 10-line block ×3, first 2 shown]
	v_fma_f64 v[14:15], v[149:150], s[14:15], v[151:152]
	v_fma_f64 v[2:3], v[149:150], s[22:23], v[147:148]
	v_add_f64_e32 v[8:9], v[42:43], v[8:9]
	v_add_f64_e32 v[10:11], v[16:17], v[10:11]
	v_fma_f64 v[42:43], v[149:150], s[18:19], v[183:184]
	v_add_f64_e32 v[6:7], v[48:49], v[6:7]
	v_fma_f64 v[16:17], v[149:150], s[20:21], v[153:154]
	v_add_f64_e32 v[4:5], v[44:45], v[4:5]
	v_add_f64_e32 v[0:1], v[12:13], v[0:1]
	;; [unrolled: 1-line block ×7, first 2 shown]
	v_sub_nc_u32_e32 v0, 0, v111
	s_delay_alu instid0(VALU_DEP_1)
	v_add_nc_u32_e32 v107, v130, v0
	v_add_nc_u32_e32 v0, 0x1000, v18
	v_add_f64_e32 v[40:41], v[42:43], v[8:9]
	v_add_f64_e32 v[42:43], v[16:17], v[10:11]
	ds_store_2addr_b64 v106, v[40:41], v[46:47] offset0:204 offset1:221
	ds_store_2addr_b64 v106, v[42:43], v[48:49] offset0:238 offset1:255
	ds_store_b64 v106, v[44:45] offset:2176
	global_wb scope:SCOPE_SE
	s_wait_dscnt 0x0
	s_barrier_signal -1
	s_barrier_wait -1
	global_inv scope:SCOPE_SE
	ds_load_b64 v[54:55], v18
                                        ; implicit-def: $vgpr50_vgpr51
	ds_load_b64 v[52:53], v105
	ds_load_2addr_b64 v[8:11], v19 offset0:33 offset1:135
	ds_load_2addr_b64 v[0:3], v0 offset0:66 offset1:168
	;; [unrolled: 1-line block ×5, first 2 shown]
	s_and_saveexec_b32 s1, s0
	s_cbranch_execz .LBB0_15
; %bb.14:
	ds_load_b64 v[40:41], v104
	ds_load_b64 v[46:47], v107 offset:3944
	ds_load_b64 v[42:43], v107 offset:6256
	;; [unrolled: 1-line block ×5, first 2 shown]
.LBB0_15:
	s_wait_alu 0xfffe
	s_or_b32 exec_lo, exec_lo, s1
	v_add_f64_e32 v[108:109], v[94:95], v[96:97]
	v_add_f64_e64 v[92:93], v[102:103], -v[92:93]
	v_add_f64_e64 v[90:91], v[100:101], -v[90:91]
	;; [unrolled: 1-line block ×3, first 2 shown]
	v_add_f64_e32 v[86:87], v[96:97], v[20:21]
	v_add_f64_e64 v[66:67], v[66:67], -v[84:85]
	v_add_f64_e64 v[56:57], v[56:57], -v[72:73]
	;; [unrolled: 1-line block ×3, first 2 shown]
	v_add_f64_e32 v[88:89], v[98:99], v[22:23]
	v_add_f64_e64 v[58:59], v[58:59], -v[60:61]
	v_add_f64_e64 v[62:63], v[62:63], -v[80:81]
	v_add_f64_e32 v[80:81], v[36:37], v[32:33]
	v_add_f64_e32 v[102:103], v[38:39], v[34:35]
	global_wb scope:SCOPE_SE
	s_wait_dscnt 0x0
	s_barrier_signal -1
	s_barrier_wait -1
	global_inv scope:SCOPE_SE
	v_add_f64_e32 v[108:109], v[108:109], v[98:99]
	v_mul_f64_e32 v[84:85], s[42:43], v[92:93]
	v_mul_f64_e32 v[96:97], s[48:49], v[92:93]
	;; [unrolled: 1-line block ×34, first 2 shown]
	v_add_f64_e32 v[108:109], v[108:109], v[74:75]
	v_fma_f64 v[160:161], v[86:87], s[14:15], v[84:85]
	v_fma_f64 v[162:163], v[86:87], s[12:13], v[96:97]
	v_fma_f64 v[96:97], v[86:87], s[12:13], -v[96:97]
	v_fma_f64 v[164:165], v[86:87], s[6:7], v[72:73]
	v_fma_f64 v[166:167], v[86:87], s[2:3], v[98:99]
	v_fma_f64 v[98:99], v[86:87], s[2:3], -v[98:99]
	v_fma_f64 v[170:171], v[86:87], s[18:19], v[110:111]
	v_fma_f64 v[110:111], v[86:87], s[18:19], -v[110:111]
	;; [unrolled: 2-line block ×3, first 2 shown]
	v_fma_f64 v[72:73], v[86:87], s[6:7], -v[72:73]
	v_fma_f64 v[84:85], v[86:87], s[14:15], -v[84:85]
	v_add_f64_e32 v[74:75], v[74:75], v[24:25]
	v_fma_f64 v[182:183], v[88:89], s[12:13], v[112:113]
	v_fma_f64 v[112:113], v[88:89], s[12:13], -v[112:113]
	v_fma_f64 v[184:185], v[88:89], s[2:3], v[114:115]
	v_fma_f64 v[114:115], v[88:89], s[2:3], -v[114:115]
	;; [unrolled: 2-line block ×6, first 2 shown]
	v_add_f64_e32 v[108:109], v[108:109], v[76:77]
	v_add_f64_e32 v[76:77], v[76:77], v[26:27]
	;; [unrolled: 1-line block ×8, first 2 shown]
	v_fma_f64 v[200:201], v[74:75], s[6:7], v[124:125]
	v_fma_f64 v[124:125], v[74:75], s[6:7], -v[124:125]
	v_fma_f64 v[202:203], v[74:75], s[18:19], v[130:131]
	v_fma_f64 v[130:131], v[74:75], s[18:19], -v[130:131]
	;; [unrolled: 2-line block ×8, first 2 shown]
	v_add_f64_e32 v[108:109], v[108:109], v[70:71]
	v_add_f64_e32 v[70:71], v[70:71], v[28:29]
	;; [unrolled: 1-line block ×7, first 2 shown]
	v_fma_f64 v[122:123], v[76:77], s[2:3], -v[142:143]
	v_mul_f64_e32 v[112:113], s[40:41], v[62:63]
	v_mul_f64_e32 v[116:117], s[38:39], v[56:57]
	v_add_f64_e32 v[100:101], v[108:109], v[64:65]
	v_mul_f64_e32 v[108:109], s[30:31], v[92:93]
	v_mul_f64_e32 v[92:93], s[40:41], v[92:93]
	v_add_f64_e32 v[64:65], v[64:65], v[30:31]
	v_add_f64_e32 v[98:99], v[134:135], v[98:99]
	;; [unrolled: 1-line block ×5, first 2 shown]
	v_fma_f64 v[140:141], v[70:71], s[16:17], -v[156:157]
	v_mul_f64_e32 v[124:125], s[46:47], v[56:57]
	v_mul_f64_e32 v[132:133], s[42:43], v[56:57]
	v_add_f64_e32 v[36:37], v[100:101], v[36:37]
	v_mul_f64_e32 v[100:101], s[50:51], v[90:91]
	v_mul_f64_e32 v[90:91], s[36:37], v[90:91]
	v_fma_f64 v[168:169], v[86:87], s[16:17], v[108:109]
	v_fma_f64 v[174:175], v[86:87], s[22:23], v[92:93]
	v_fma_f64 v[92:93], v[86:87], s[22:23], -v[92:93]
	v_fma_f64 v[108:109], v[86:87], s[16:17], -v[108:109]
	v_mul_f64_e32 v[86:87], s[52:53], v[66:67]
	v_add_f64_e32 v[84:85], v[122:123], v[84:85]
	v_mul_f64_e32 v[122:123], s[36:37], v[58:59]
	v_add_f64_e32 v[36:37], v[36:37], v[38:39]
	v_fma_f64 v[192:193], v[88:89], s[16:17], v[100:101]
	v_fma_f64 v[100:101], v[88:89], s[16:17], -v[100:101]
	v_fma_f64 v[196:197], v[88:89], s[14:15], v[90:91]
	v_fma_f64 v[88:89], v[88:89], s[14:15], -v[90:91]
	v_add_f64_e32 v[90:91], v[94:95], v[160:161]
	v_add_f64_e32 v[160:161], v[94:95], v[162:163]
	;; [unrolled: 1-line block ×10, first 2 shown]
	v_mul_f64_e32 v[38:39], s[28:29], v[66:67]
	v_mul_f64_e32 v[94:95], s[50:51], v[62:63]
	;; [unrolled: 1-line block ×3, first 2 shown]
	v_add_f64_e32 v[34:35], v[36:37], v[34:35]
	v_mul_f64_e32 v[36:37], s[34:35], v[66:67]
	v_add_f64_e32 v[100:101], v[100:101], v[110:111]
	v_mul_f64_e32 v[66:67], s[34:35], v[62:63]
	v_add_f64_e32 v[82:83], v[182:183], v[90:91]
	v_add_f64_e32 v[90:91], v[184:185], v[160:161]
	;; [unrolled: 1-line block ×10, first 2 shown]
	v_fma_f64 v[120:121], v[76:77], s[2:3], v[142:143]
	v_fma_f64 v[142:143], v[76:77], s[22:23], v[144:145]
	v_fma_f64 v[144:145], v[76:77], s[22:23], -v[144:145]
	v_fma_f64 v[166:167], v[76:77], s[16:17], v[146:147]
	v_fma_f64 v[146:147], v[76:77], s[16:17], -v[146:147]
	;; [unrolled: 2-line block ×7, first 2 shown]
	v_mul_f64_e32 v[108:109], s[48:49], v[62:63]
	v_fma_f64 v[186:187], v[70:71], s[2:3], v[178:179]
	v_fma_f64 v[178:179], v[70:71], s[2:3], -v[178:179]
	v_fma_f64 v[188:189], v[70:71], s[14:15], v[180:181]
	v_fma_f64 v[180:181], v[70:71], s[14:15], -v[180:181]
	v_add_f64_e32 v[32:33], v[34:35], v[32:33]
	v_mul_f64_e32 v[34:35], s[26:27], v[62:63]
	v_add_f64_e32 v[100:101], v[138:139], v[100:101]
	v_mul_f64_e32 v[62:63], s[24:25], v[62:63]
	v_fma_f64 v[138:139], v[70:71], s[16:17], v[156:157]
	v_add_f64_e32 v[78:79], v[200:201], v[82:83]
	v_add_f64_e32 v[82:83], v[202:203], v[90:91]
	v_add_f64_e32 v[90:91], v[130:131], v[96:97]
	v_add_f64_e32 v[96:97], v[204:205], v[114:115]
	v_add_f64_e32 v[114:115], v[206:207], v[160:161]
	v_add_f64_e32 v[118:119], v[208:209], v[118:119]
	v_add_f64_e32 v[130:131], v[210:211], v[162:163]
	v_add_f64_e32 v[110:111], v[212:213], v[110:111]
	v_add_f64_e32 v[134:135], v[214:215], v[164:165]
	v_add_f64_e32 v[74:75], v[74:75], v[88:89]
	v_add_f64_e32 v[88:89], v[136:137], v[92:93]
	v_fma_f64 v[156:157], v[70:71], s[20:21], v[158:159]
	v_fma_f64 v[158:159], v[70:71], s[20:21], -v[158:159]
	v_fma_f64 v[160:161], v[70:71], s[12:13], v[38:39]
	v_fma_f64 v[38:39], v[70:71], s[12:13], -v[38:39]
	;; [unrolled: 2-line block ×5, first 2 shown]
	v_add_f64_e32 v[98:99], v[148:149], v[98:99]
	v_add_f64_e32 v[60:61], v[154:155], v[60:61]
	;; [unrolled: 1-line block ×3, first 2 shown]
	v_mul_f64_e32 v[92:93], s[44:45], v[56:57]
	v_mul_f64_e32 v[136:137], s[40:41], v[56:57]
	v_fma_f64 v[146:147], v[64:65], s[14:15], -v[174:175]
	v_fma_f64 v[148:149], v[64:65], s[20:21], v[198:199]
	v_fma_f64 v[154:155], v[64:65], s[12:13], v[108:109]
	v_fma_f64 v[108:109], v[64:65], s[12:13], -v[108:109]
	v_add_f64_e32 v[30:31], v[32:33], v[30:31]
	v_mul_f64_e32 v[32:33], s[24:25], v[56:57]
	v_add_f64_e32 v[100:101], v[152:153], v[100:101]
	v_fma_f64 v[152:153], v[64:65], s[2:3], v[34:35]
	v_fma_f64 v[34:35], v[64:65], s[2:3], -v[34:35]
	v_add_f64_e32 v[70:71], v[120:121], v[78:79]
	v_add_f64_e32 v[78:79], v[142:143], v[82:83]
	;; [unrolled: 1-line block ×11, first 2 shown]
	v_fma_f64 v[134:135], v[64:65], s[18:19], v[66:67]
	v_fma_f64 v[66:67], v[64:65], s[18:19], -v[66:67]
	v_fma_f64 v[142:143], v[64:65], s[16:17], v[94:95]
	v_fma_f64 v[94:95], v[64:65], s[16:17], -v[94:95]
	;; [unrolled: 2-line block ×5, first 2 shown]
	v_add_f64_e32 v[86:87], v[86:87], v[98:99]
	v_add_f64_e32 v[60:61], v[180:181], v[60:61]
	;; [unrolled: 1-line block ×4, first 2 shown]
	v_mul_f64_e32 v[88:89], s[40:41], v[58:59]
	v_mul_f64_e32 v[130:131], s[38:39], v[58:59]
	v_fma_f64 v[140:141], v[80:81], s[2:3], v[92:93]
	v_fma_f64 v[92:93], v[80:81], s[2:3], -v[92:93]
	v_mul_f64_e32 v[84:85], s[24:25], v[58:59]
	v_add_f64_e32 v[28:29], v[30:31], v[28:29]
	v_mul_f64_e32 v[30:31], s[28:29], v[56:57]
	v_mul_f64_e32 v[56:57], s[30:31], v[56:57]
	v_add_f64_e32 v[100:101], v[178:179], v[100:101]
	v_add_f64_e32 v[64:65], v[138:139], v[70:71]
	v_add_f64_e32 v[70:71], v[156:157], v[78:79]
	v_add_f64_e32 v[78:79], v[158:159], v[82:83]
	v_add_f64_e32 v[82:83], v[160:161], v[90:91]
	v_add_f64_e32 v[90:91], v[162:163], v[96:97]
	v_add_f64_e32 v[96:97], v[164:165], v[114:115]
	v_add_f64_e32 v[98:99], v[186:187], v[118:119]
	v_add_f64_e32 v[110:111], v[188:189], v[110:111]
	v_add_f64_e32 v[114:115], v[190:191], v[120:121]
	v_add_f64_e32 v[36:37], v[36:37], v[74:75]
	v_add_f64_e32 v[74:75], v[176:177], v[76:77]
	v_fma_f64 v[120:121], v[80:81], s[20:21], v[116:117]
	v_fma_f64 v[116:117], v[80:81], s[20:21], -v[116:117]
	v_fma_f64 v[138:139], v[80:81], s[6:7], v[32:33]
	v_fma_f64 v[32:33], v[80:81], s[6:7], -v[32:33]
	;; [unrolled: 2-line block ×5, first 2 shown]
	v_mul_f64_e32 v[76:77], s[34:35], v[58:59]
	v_add_f64_e32 v[86:87], v[150:151], v[86:87]
	v_mul_f64_e32 v[118:119], s[30:31], v[58:59]
	v_add_f64_e32 v[60:61], v[112:113], v[60:61]
	v_add_f64_e32 v[38:39], v[146:147], v[38:39]
	;; [unrolled: 1-line block ×3, first 2 shown]
	v_fma_f64 v[162:163], v[80:81], s[12:13], v[30:31]
	v_fma_f64 v[30:31], v[80:81], s[12:13], -v[30:31]
	v_fma_f64 v[164:165], v[80:81], s[16:17], v[56:57]
	v_fma_f64 v[56:57], v[80:81], s[16:17], -v[56:57]
	v_add_f64_e32 v[64:65], v[134:135], v[64:65]
	v_add_f64_e32 v[70:71], v[142:143], v[70:71]
	;; [unrolled: 1-line block ×4, first 2 shown]
	v_mul_f64_e32 v[28:29], s[28:29], v[58:59]
	v_add_f64_e32 v[82:83], v[148:149], v[90:91]
	v_add_f64_e32 v[90:91], v[152:153], v[96:97]
	;; [unrolled: 1-line block ×5, first 2 shown]
	v_mul_f64_e32 v[58:59], s[26:27], v[58:59]
	v_add_f64_e32 v[100:101], v[168:169], v[114:115]
	v_add_f64_e32 v[36:37], v[62:63], v[36:37]
	;; [unrolled: 1-line block ×4, first 2 shown]
	v_fma_f64 v[66:67], v[102:103], s[22:23], -v[88:89]
	v_fma_f64 v[72:73], v[102:103], s[14:15], v[122:123]
	v_fma_f64 v[74:75], v[102:103], s[14:15], -v[122:123]
	v_fma_f64 v[114:115], v[102:103], s[6:7], v[84:85]
	v_fma_f64 v[108:109], v[102:103], s[20:21], -v[130:131]
	v_fma_f64 v[84:85], v[102:103], s[6:7], -v[84:85]
	v_fma_f64 v[112:113], v[102:103], s[18:19], v[76:77]
	v_fma_f64 v[76:77], v[102:103], s[18:19], -v[76:77]
	v_fma_f64 v[122:123], v[102:103], s[16:17], v[118:119]
	v_fma_f64 v[118:119], v[102:103], s[16:17], -v[118:119]
	v_add_f64_e32 v[38:39], v[92:93], v[38:39]
	v_add_f64_e32 v[24:25], v[26:27], v[24:25]
	v_fma_f64 v[26:27], v[102:103], s[22:23], v[88:89]
	v_fma_f64 v[88:89], v[102:103], s[20:21], v[130:131]
	v_add_f64_e32 v[30:31], v[30:31], v[60:61]
	v_add_f64_e32 v[64:65], v[120:121], v[64:65]
	v_add_f64_e32 v[70:71], v[138:139], v[70:71]
	v_add_f64_e32 v[32:33], v[32:33], v[78:79]
	v_add_f64_e32 v[78:79], v[140:141], v[80:81]
	v_fma_f64 v[110:111], v[102:103], s[12:13], v[28:29]
	v_fma_f64 v[28:29], v[102:103], s[12:13], -v[28:29]
	v_add_f64_e32 v[80:81], v[156:157], v[82:83]
	v_add_f64_e32 v[82:83], v[124:125], v[86:87]
	;; [unrolled: 1-line block ×6, first 2 shown]
	v_fma_f64 v[130:131], v[102:103], s[2:3], v[58:59]
	v_fma_f64 v[58:59], v[102:103], s[2:3], -v[58:59]
	v_add_f64_e32 v[98:99], v[164:165], v[100:101]
	v_add_f64_e32 v[36:37], v[56:57], v[36:37]
	;; [unrolled: 1-line block ×21, first 2 shown]
	v_add_nc_u32_e32 v34, 0x1800, v107
	v_add_nc_u32_e32 v38, 0x2000, v107
	v_add_nc_u32_e32 v39, 0x2c00, v107
                                        ; implicit-def: $vgpr66_vgpr67
	v_add_f64_e32 v[20:21], v[22:23], v[20:21]
	v_add_nc_u32_e32 v22, 0x800, v107
	v_add_nc_u32_e32 v23, 0x1000, v107
	ds_store_2addr_b64 v106, v[26:27], v[32:33] offset0:34 offset1:51
	ds_store_2addr_b64 v106, v[70:71], v[28:29] offset0:68 offset1:85
	;; [unrolled: 1-line block ×7, first 2 shown]
	ds_store_b64 v106, v[60:61] offset:2176
	ds_store_2addr_b64 v106, v[20:21], v[24:25] offset1:17
	global_wb scope:SCOPE_SE
	s_wait_dscnt 0x0
	s_barrier_signal -1
	s_barrier_wait -1
	global_inv scope:SCOPE_SE
	ds_load_2addr_b64 v[28:31], v22 offset0:33 offset1:135
	ds_load_2addr_b64 v[20:23], v23 offset0:66 offset1:168
	;; [unrolled: 1-line block ×5, first 2 shown]
	ds_load_b64 v[74:75], v107
	ds_load_b64 v[72:73], v105
	s_and_saveexec_b32 s1, s0
	s_cbranch_execz .LBB0_17
; %bb.16:
	ds_load_b64 v[56:57], v104
	ds_load_b64 v[62:63], v107 offset:3944
	ds_load_b64 v[58:59], v107 offset:6256
	;; [unrolled: 1-line block ×5, first 2 shown]
.LBB0_17:
	s_wait_alu 0xfffe
	s_or_b32 exec_lo, exec_lo, s1
	s_and_saveexec_b32 s1, vcc_lo
	s_cbranch_execz .LBB0_20
; %bb.18:
	v_mul_i32_i24_e32 v70, 5, v129
	v_mul_u32_u24_e32 v78, 5, v126
	v_mov_b32_e32 v71, 0
	v_add_nc_u32_e32 v147, 0x3c9, v126
	v_add_nc_u32_e32 v149, 0x60b, v126
	;; [unrolled: 1-line block ×3, first 2 shown]
	s_mov_b32 s6, 0xe8584caa
	v_lshlrev_b64_e32 v[76:77], 4, v[70:71]
	v_lshlrev_b32_e32 v70, 4, v78
	v_mad_co_u64_u32 v[133:134], null, s8, v149, 0
	s_mov_b32 s7, 0x3febb67a
	s_mov_b32 s3, 0xbfebb67a
	s_delay_alu instid0(VALU_DEP_3)
	v_add_co_u32 v112, vcc_lo, s4, v76
	s_wait_alu 0xfffd
	v_add_co_ci_u32_e32 v113, vcc_lo, s5, v77, vcc_lo
	s_clause 0x9
	global_load_b128 v[76:79], v70, s[4:5] offset:4384
	global_load_b128 v[80:83], v70, s[4:5] offset:4416
	global_load_b128 v[84:87], v[112:113], off offset:4384
	global_load_b128 v[88:91], v[112:113], off offset:4416
	;; [unrolled: 1-line block ×3, first 2 shown]
	global_load_b128 v[96:99], v70, s[4:5] offset:4352
	global_load_b128 v[100:103], v70, s[4:5] offset:4368
	;; [unrolled: 1-line block ×3, first 2 shown]
	global_load_b128 v[108:111], v[112:113], off offset:4368
	global_load_b128 v[112:115], v[112:113], off offset:4400
	s_wait_alu 0xfffe
	s_mov_b32 s2, s6
	s_wait_loadcnt_dscnt 0x904
	v_mul_f64_e32 v[116:117], v[32:33], v[78:79]
	v_mul_f64_e32 v[78:79], v[12:13], v[78:79]
	s_wait_loadcnt 0x7
	v_mul_f64_e32 v[120:121], v[34:35], v[86:87]
	s_wait_loadcnt_dscnt 0x602
	v_mul_f64_e32 v[122:123], v[38:39], v[90:91]
	v_mul_f64_e32 v[86:87], v[14:15], v[86:87]
	;; [unrolled: 1-line block ×5, first 2 shown]
	s_wait_loadcnt 0x5
	v_mul_f64_e32 v[124:125], v[30:31], v[94:95]
	v_mul_f64_e32 v[94:95], v[10:11], v[94:95]
	s_wait_loadcnt 0x4
	v_mul_f64_e32 v[129:130], v[28:29], v[98:99]
	v_mul_f64_e32 v[98:99], v[8:9], v[98:99]
	v_fma_f64 v[116:117], v[12:13], v[76:77], -v[116:117]
	v_fma_f64 v[32:33], v[32:33], v[76:77], v[78:79]
	v_fma_f64 v[14:15], v[14:15], v[84:85], -v[120:121]
	v_fma_f64 v[18:19], v[18:19], v[88:89], -v[122:123]
	v_fma_f64 v[34:35], v[34:35], v[84:85], v[86:87]
	v_fma_f64 v[38:39], v[38:39], v[88:89], v[90:91]
	;; [unrolled: 1-line block ×3, first 2 shown]
	v_fma_f64 v[16:17], v[16:17], v[80:81], -v[82:83]
	s_wait_loadcnt 0x0
	v_mul_f64_e32 v[88:89], v[26:27], v[114:115]
	v_mul_f64_e32 v[90:91], v[2:3], v[110:111]
	v_fma_f64 v[10:11], v[10:11], v[92:93], -v[124:125]
	v_fma_f64 v[30:31], v[30:31], v[92:93], v[94:95]
	v_mul_f64_e32 v[78:79], v[20:21], v[102:103]
	v_mul_f64_e32 v[80:81], v[24:25], v[106:107]
	;; [unrolled: 1-line block ×5, first 2 shown]
	v_fma_f64 v[8:9], v[8:9], v[96:97], -v[129:130]
	v_fma_f64 v[28:29], v[28:29], v[96:97], v[98:99]
	v_mul_f64_e32 v[86:87], v[22:23], v[110:111]
	v_mad_co_u64_u32 v[76:77], null, s8, v126, 0
	v_add_nc_u32_e32 v135, 0x121, v126
	v_add_co_u32 v12, vcc_lo, s10, v68
	s_wait_alu 0xfffd
	v_add_co_ci_u32_e32 v13, vcc_lo, s11, v69, vcc_lo
	v_mad_co_u64_u32 v[68:69], null, s8, v128, 0
	v_mov_b32_e32 v70, v77
	v_mad_co_u64_u32 v[106:107], null, s8, v135, 0
	v_add_nc_u32_e32 v137, 0x363, v126
	v_mad_co_u64_u32 v[129:130], null, s8, v147, 0
	v_mad_co_u64_u32 v[122:123], null, s8, v140, 0
	v_add_f64_e32 v[92:93], v[14:15], v[18:19]
	v_add_f64_e32 v[94:95], v[34:35], v[38:39]
	;; [unrolled: 1-line block ×4, first 2 shown]
	v_fma_f64 v[6:7], v[6:7], v[112:113], -v[88:89]
	v_fma_f64 v[22:23], v[22:23], v[108:109], v[90:91]
	v_fma_f64 v[0:1], v[0:1], v[100:101], -v[78:79]
	v_fma_f64 v[4:5], v[4:5], v[104:105], -v[80:81]
	v_fma_f64 v[20:21], v[20:21], v[100:101], v[82:83]
	v_fma_f64 v[24:25], v[24:25], v[104:105], v[84:85]
	;; [unrolled: 1-line block ×3, first 2 shown]
	v_add_f64_e64 v[77:78], v[32:33], -v[36:37]
	v_add_f64_e64 v[79:80], v[116:117], -v[16:17]
	v_fma_f64 v[2:3], v[2:3], v[108:109], -v[86:87]
	v_add_f64_e64 v[85:86], v[34:35], -v[38:39]
	v_add_f64_e64 v[87:88], v[14:15], -v[18:19]
	v_mov_b32_e32 v100, v130
	v_mov_b32_e32 v102, v134
	v_fma_f64 v[89:90], v[92:93], -0.5, v[10:11]
	v_add_f64_e32 v[10:11], v[10:11], v[14:15]
	v_fma_f64 v[91:92], v[94:95], -0.5, v[30:31]
	v_mad_co_u64_u32 v[93:94], null, s9, v126, v[70:71]
	v_mov_b32_e32 v70, v107
	v_mad_co_u64_u32 v[114:115], null, s8, v137, 0
	v_add_nc_u32_e32 v136, 0x242, v126
	v_fma_f64 v[81:82], v[96:97], -0.5, v[28:29]
	v_fma_f64 v[83:84], v[98:99], -0.5, v[8:9]
	v_mad_co_u64_u32 v[98:99], null, s9, v128, v[69:70]
	v_mad_co_u64_u32 v[103:104], null, s9, v135, v[70:71]
	v_mov_b32_e32 v95, v115
	v_mad_co_u64_u32 v[110:111], null, s8, v136, 0
	v_add_nc_u32_e32 v139, 0x5a5, v126
	v_add_f64_e32 v[112:113], v[20:21], v[24:25]
	v_add_f64_e32 v[134:135], v[0:1], v[4:5]
	v_mov_b32_e32 v69, v123
	v_add_f64_e32 v[30:31], v[30:31], v[34:35]
	v_add_f64_e32 v[34:35], v[52:53], v[2:3]
	v_mov_b32_e32 v94, v111
	v_mad_co_u64_u32 v[120:121], null, s8, v139, 0
	v_add_nc_u32_e32 v138, 0x484, v126
	v_mad_co_u64_u32 v[108:109], null, s9, v140, v[69:70]
	s_delay_alu instid0(VALU_DEP_4)
	v_mad_co_u64_u32 v[104:105], null, s9, v136, v[94:95]
	v_add_f64_e32 v[14:15], v[28:29], v[32:33]
	v_mov_b32_e32 v97, v121
	v_mad_co_u64_u32 v[118:119], null, s8, v138, 0
	v_add_nc_u32_e32 v141, 0x2a8, v126
	v_add_f64_e32 v[8:9], v[8:9], v[116:117]
	v_mov_b32_e32 v111, v104
	v_mov_b32_e32 v107, v103
	v_fma_f64 v[145:146], v[87:88], s[6:7], v[91:92]
	s_wait_alu 0xfffe
	v_fma_f64 v[87:88], v[87:88], s[2:3], v[91:92]
	v_mov_b32_e32 v96, v119
	v_mad_co_u64_u32 v[124:125], null, s8, v141, 0
	v_dual_mov_b32 v123, v108 :: v_dual_add_nc_u32 v148, 0x4ea, v126
	s_delay_alu instid0(VALU_DEP_3) | instskip(SKIP_1) | instid1(VALU_DEP_4)
	v_mad_co_u64_u32 v[94:95], null, s9, v137, v[95:96]
	v_mad_co_u64_u32 v[95:96], null, s9, v138, v[96:97]
	v_mov_b32_e32 v99, v125
	v_fma_f64 v[143:144], v[77:78], s[6:7], v[83:84]
	v_fma_f64 v[83:84], v[77:78], s[2:3], v[83:84]
	v_mad_co_u64_u32 v[96:97], null, s9, v139, v[97:98]
	s_delay_alu instid0(VALU_DEP_4)
	v_mad_co_u64_u32 v[136:137], null, s9, v141, v[99:100]
	v_add_f64_e32 v[137:138], v[22:23], v[26:27]
	v_fma_f64 v[141:142], v[79:80], s[6:7], v[81:82]
	v_fma_f64 v[78:79], v[79:80], s[2:3], v[81:82]
	v_add_f64_e32 v[139:140], v[2:3], v[6:7]
	v_fma_f64 v[80:81], v[85:86], s[2:3], v[89:90]
	v_fma_f64 v[85:86], v[85:86], s[6:7], v[89:90]
	v_mad_co_u64_u32 v[131:132], null, s8, v148, 0
	v_mov_b32_e32 v115, v94
	v_mov_b32_e32 v119, v95
	;; [unrolled: 1-line block ×3, first 2 shown]
	s_wait_dscnt 0x0
	v_add_f64_e32 v[95:96], v[72:73], v[22:23]
	v_fma_f64 v[28:29], v[112:113], -0.5, v[74:75]
	v_fma_f64 v[32:33], v[134:135], -0.5, v[54:55]
	v_mov_b32_e32 v101, v132
	v_add_f64_e64 v[2:3], v[2:3], -v[6:7]
	v_add_f64_e64 v[22:23], v[22:23], -v[26:27]
	v_mov_b32_e32 v125, v136
	v_add_f64_e32 v[10:11], v[10:11], v[18:19]
	v_mad_co_u64_u32 v[89:90], null, s9, v147, v[100:101]
	v_mad_co_u64_u32 v[90:91], null, s9, v149, v[102:103]
	v_add_f64_e64 v[91:92], v[0:1], -v[4:5]
	v_add_f64_e32 v[0:1], v[54:55], v[0:1]
	v_mov_b32_e32 v69, v98
	v_add_f64_e32 v[14:15], v[14:15], v[36:37]
	v_mov_b32_e32 v130, v89
	v_mad_co_u64_u32 v[99:100], null, s9, v148, v[101:102]
	v_dual_mov_b32 v134, v90 :: v_dual_mov_b32 v77, v93
	v_add_f64_e32 v[93:94], v[74:75], v[20:21]
	v_add_f64_e64 v[20:21], v[20:21], -v[24:25]
	v_mul_f64_e32 v[74:75], s[2:3], v[143:144]
	v_mul_f64_e32 v[97:98], -0.5, v[83:84]
	v_mov_b32_e32 v132, v99
	v_mul_f64_e32 v[89:90], s[6:7], v[87:88]
	v_fma_f64 v[54:55], v[137:138], -0.5, v[72:73]
	v_mul_f64_e32 v[72:73], -0.5, v[141:142]
	v_mul_f64_e32 v[100:101], s[6:7], v[78:79]
	v_fma_f64 v[52:53], v[139:140], -0.5, v[52:53]
	v_mul_f64_e32 v[102:103], -0.5, v[145:146]
	v_mul_f64_e32 v[104:105], s[2:3], v[85:86]
	v_mul_f64_e32 v[112:113], -0.5, v[80:81]
	v_add_f64_e32 v[18:19], v[8:9], v[16:17]
	v_lshlrev_b64_e32 v[108:109], 4, v[110:111]
	v_lshlrev_b64_e32 v[110:111], 4, v[114:115]
	;; [unrolled: 1-line block ×12, first 2 shown]
	v_fma_f64 v[36:37], v[91:92], s[2:3], v[28:29]
	v_add_f64_e32 v[24:25], v[93:94], v[24:25]
	v_add_f64_e32 v[93:94], v[0:1], v[4:5]
	;; [unrolled: 1-line block ×5, first 2 shown]
	v_fma_f64 v[34:35], v[91:92], s[6:7], v[28:29]
	v_fma_f64 v[38:39], v[20:21], s[2:3], v[32:33]
	;; [unrolled: 1-line block ×4, first 2 shown]
	v_fma_f64 v[32:33], v[78:79], 0.5, v[74:75]
	v_fma_f64 v[72:73], v[143:144], 0.5, v[100:101]
	v_fma_f64 v[95:96], v[2:3], s[6:7], v[54:55]
	v_fma_f64 v[130:131], v[2:3], s[2:3], v[54:55]
	;; [unrolled: 1-line block ×4, first 2 shown]
	v_fma_f64 v[78:79], v[87:88], 0.5, v[104:105]
	v_fma_f64 v[52:53], v[22:23], s[6:7], v[52:53]
	v_fma_f64 v[84:85], v[85:86], 0.5, v[89:90]
	v_fma_f64 v[74:75], v[80:81], s[2:3], v[102:103]
	v_fma_f64 v[80:81], v[145:146], s[6:7], v[112:113]
	v_add_co_u32 v87, vcc_lo, v12, v76
	s_wait_alu 0xfffd
	v_add_co_ci_u32_e32 v88, vcc_lo, v13, v77, vcc_lo
	v_add_co_u32 v68, vcc_lo, v12, v68
	s_wait_alu 0xfffd
	v_add_co_ci_u32_e32 v69, vcc_lo, v13, v69, vcc_lo
	v_add_co_u32 v89, vcc_lo, v12, v106
	s_wait_alu 0xfffd
	v_add_co_ci_u32_e32 v90, vcc_lo, v13, v107, vcc_lo
	v_add_co_u32 v97, vcc_lo, v12, v108
	s_wait_alu 0xfffd
	v_add_co_ci_u32_e32 v98, vcc_lo, v13, v109, vcc_lo
	v_add_co_u32 v99, vcc_lo, v12, v110
	v_add_f64_e32 v[16:17], v[24:25], v[14:15]
	v_add_f64_e64 v[8:9], v[93:94], -v[18:19]
	s_wait_alu 0xfffd
	v_add_co_ci_u32_e32 v100, vcc_lo, v13, v111, vcc_lo
	v_add_f64_e64 v[2:3], v[4:5], -v[26:27]
	v_add_f64_e64 v[0:1], v[30:31], -v[10:11]
	v_add_f64_e32 v[6:7], v[4:5], v[26:27]
	v_add_f64_e32 v[4:5], v[30:31], v[10:11]
	v_add_f64_e64 v[10:11], v[24:25], -v[14:15]
	v_add_f64_e32 v[14:15], v[93:94], v[18:19]
	v_add_f64_e64 v[24:25], v[36:37], -v[32:33]
	v_add_f64_e32 v[32:33], v[36:37], v[32:33]
	v_add_f64_e32 v[30:31], v[91:92], v[72:73]
	v_add_f64_e64 v[20:21], v[34:35], -v[28:29]
	v_add_f64_e32 v[28:29], v[34:35], v[28:29]
	v_add_f64_e32 v[26:27], v[38:39], v[54:55]
	v_add_f64_e64 v[22:23], v[91:92], -v[72:73]
	v_add_f64_e64 v[18:19], v[38:39], -v[54:55]
	;; [unrolled: 1-line block ×3, first 2 shown]
	v_add_f64_e32 v[78:79], v[130:131], v[78:79]
	v_add_f64_e32 v[76:77], v[52:53], v[84:85]
	v_add_f64_e64 v[36:37], v[95:96], -v[74:75]
	v_add_f64_e32 v[74:75], v[95:96], v[74:75]
	v_add_f64_e32 v[72:73], v[82:83], v[80:81]
	v_add_f64_e64 v[52:53], v[52:53], -v[84:85]
	v_add_f64_e64 v[34:35], v[82:83], -v[80:81]
	v_add_co_u32 v38, vcc_lo, v12, v114
	s_wait_alu 0xfffd
	v_add_co_ci_u32_e32 v39, vcc_lo, v13, v115, vcc_lo
	v_add_co_u32 v80, vcc_lo, v12, v116
	s_wait_alu 0xfffd
	v_add_co_ci_u32_e32 v81, vcc_lo, v13, v117, vcc_lo
	;; [unrolled: 3-line block ×7, first 2 shown]
	s_clause 0xb
	global_store_b128 v[87:88], v[14:17], off
	global_store_b128 v[89:90], v[30:33], off
	;; [unrolled: 1-line block ×12, first 2 shown]
	s_and_b32 exec_lo, exec_lo, s0
	s_cbranch_execz .LBB0_20
; %bb.19:
	v_add_nc_u32_e32 v0, 0xffffffab, v126
	v_add_nc_u32_e32 v53, 0x671, v126
	s_delay_alu instid0(VALU_DEP_2) | instskip(NEXT) | instid1(VALU_DEP_1)
	v_cndmask_b32_e64 v0, v0, v127, s0
	v_mul_i32_i24_e32 v70, 5, v0
	s_delay_alu instid0(VALU_DEP_1) | instskip(NEXT) | instid1(VALU_DEP_1)
	v_lshlrev_b64_e32 v[0:1], 4, v[70:71]
	v_add_co_u32 v18, vcc_lo, s4, v0
	s_wait_alu 0xfffd
	s_delay_alu instid0(VALU_DEP_2)
	v_add_co_ci_u32_e32 v19, vcc_lo, s5, v1, vcc_lo
	s_clause 0x4
	global_load_b128 v[0:3], v[18:19], off offset:4384
	global_load_b128 v[4:7], v[18:19], off offset:4416
	;; [unrolled: 1-line block ×5, first 2 shown]
	s_wait_loadcnt 0x4
	v_mul_f64_e32 v[22:23], v[64:65], v[2:3]
	v_mul_f64_e32 v[2:3], v[48:49], v[2:3]
	s_wait_loadcnt 0x3
	v_mul_f64_e32 v[24:25], v[50:51], v[6:7]
	v_mul_f64_e32 v[6:7], v[66:67], v[6:7]
	;; [unrolled: 3-line block ×3, first 2 shown]
	v_fma_f64 v[22:23], v[48:49], v[0:1], -v[22:23]
	v_fma_f64 v[0:1], v[64:65], v[0:1], v[2:3]
	v_fma_f64 v[2:3], v[66:67], v[4:5], v[24:25]
	v_fma_f64 v[4:5], v[50:51], v[4:5], -v[6:7]
	s_wait_loadcnt 0x1
	v_mul_f64_e32 v[6:7], v[58:59], v[16:17]
	v_mul_f64_e32 v[16:17], v[42:43], v[16:17]
	s_wait_loadcnt 0x0
	v_mul_f64_e32 v[24:25], v[60:61], v[20:21]
	v_mul_f64_e32 v[20:21], v[44:45], v[20:21]
	v_fma_f64 v[26:27], v[46:47], v[8:9], -v[26:27]
	v_fma_f64 v[8:9], v[62:63], v[8:9], v[10:11]
	v_add_f64_e32 v[10:11], v[0:1], v[2:3]
	v_add_f64_e32 v[28:29], v[22:23], v[4:5]
	v_fma_f64 v[6:7], v[42:43], v[14:15], -v[6:7]
	v_fma_f64 v[14:15], v[58:59], v[14:15], v[16:17]
	v_fma_f64 v[16:17], v[44:45], v[18:19], -v[24:25]
	v_fma_f64 v[18:19], v[60:61], v[18:19], v[20:21]
	v_add_f64_e64 v[20:21], v[0:1], -v[2:3]
	v_add_f64_e64 v[24:25], v[22:23], -v[4:5]
	v_add_f64_e32 v[22:23], v[26:27], v[22:23]
	v_add_f64_e32 v[0:1], v[8:9], v[0:1]
	v_fma_f64 v[10:11], v[10:11], -0.5, v[8:9]
	v_fma_f64 v[28:29], v[28:29], -0.5, v[26:27]
	v_add_f64_e32 v[30:31], v[6:7], v[16:17]
	v_add_f64_e32 v[32:33], v[14:15], v[18:19]
	;; [unrolled: 1-line block ×3, first 2 shown]
	v_fma_f64 v[34:35], v[24:25], s[2:3], v[10:11]
	v_fma_f64 v[36:37], v[20:21], s[2:3], v[28:29]
	;; [unrolled: 1-line block ×4, first 2 shown]
	v_add_f64_e32 v[24:25], v[40:41], v[6:7]
	v_fma_f64 v[8:9], v[30:31], -0.5, v[40:41]
	v_fma_f64 v[26:27], v[32:33], -0.5, v[56:57]
	v_add_f64_e64 v[28:29], v[14:15], -v[18:19]
	v_add_f64_e64 v[6:7], v[6:7], -v[16:17]
	v_add_f64_e32 v[14:15], v[56:57], v[14:15]
	v_mul_f64_e32 v[30:31], s[6:7], v[34:35]
	v_mul_f64_e32 v[32:33], -0.5, v[36:37]
	v_mul_f64_e32 v[38:39], s[2:3], v[20:21]
	v_mul_f64_e32 v[40:41], -0.5, v[10:11]
	v_add_f64_e32 v[16:17], v[24:25], v[16:17]
	v_fma_f64 v[22:23], v[28:29], s[6:7], v[8:9]
	v_fma_f64 v[24:25], v[28:29], s[2:3], v[8:9]
	;; [unrolled: 1-line block ×4, first 2 shown]
	v_add_f64_e32 v[14:15], v[14:15], v[18:19]
	v_add_f64_e32 v[18:19], v[0:1], v[2:3]
	v_fma_f64 v[20:21], v[20:21], 0.5, v[30:31]
	v_fma_f64 v[30:31], v[10:11], s[6:7], v[32:33]
	v_fma_f64 v[32:33], v[34:35], 0.5, v[38:39]
	v_fma_f64 v[34:35], v[36:37], s[2:3], v[40:41]
	v_mad_co_u64_u32 v[40:41], null, s8, v53, 0
	s_delay_alu instid0(VALU_DEP_1) | instskip(NEXT) | instid1(VALU_DEP_1)
	v_dual_mov_b32 v7, v41 :: v_dual_add_nc_u32 v50, 0x30e, v126
	v_mad_co_u64_u32 v[46:47], null, s8, v50, 0
	s_delay_alu instid0(VALU_DEP_1) | instskip(NEXT) | instid1(VALU_DEP_1)
	v_dual_mov_b32 v2, v47 :: v_dual_add_nc_u32 v51, 0x42f, v126
	;; [unrolled: 3-line block ×4, first 2 shown]
	v_mad_co_u64_u32 v[44:45], null, s8, v49, 0
	v_add_f64_e32 v[10:11], v[28:29], v[32:33]
	s_delay_alu instid0(VALU_DEP_2) | instskip(NEXT) | instid1(VALU_DEP_1)
	v_mov_b32_e32 v1, v45
	v_mad_co_u64_u32 v[8:9], null, s9, v48, v[0:1]
	v_add_nc_u32_e32 v52, 0x550, v126
	v_mad_co_u64_u32 v[0:1], null, s9, v49, v[1:2]
	v_mad_co_u64_u32 v[1:2], null, s9, v50, v[2:3]
	;; [unrolled: 1-line block ×3, first 2 shown]
	v_mov_b32_e32 v43, v8
	v_mad_co_u64_u32 v[38:39], null, s8, v52, 0
	v_mov_b32_e32 v45, v0
	v_mov_b32_e32 v47, v1
	v_add_f64_e32 v[0:1], v[16:17], v[4:5]
	v_mov_b32_e32 v37, v2
	v_add_f64_e32 v[2:3], v[14:15], v[18:19]
	v_add_f64_e64 v[4:5], v[16:17], -v[4:5]
	v_mov_b32_e32 v6, v39
	v_add_f64_e32 v[16:17], v[26:27], v[34:35]
	s_delay_alu instid0(VALU_DEP_2)
	v_mad_co_u64_u32 v[48:49], null, s9, v52, v[6:7]
	v_mad_co_u64_u32 v[49:50], null, s9, v53, v[7:8]
	v_add_f64_e32 v[8:9], v[22:23], v[20:21]
	v_add_f64_e64 v[6:7], v[14:15], -v[18:19]
	v_add_f64_e32 v[14:15], v[24:25], v[30:31]
	v_add_f64_e64 v[18:19], v[22:23], -v[20:21]
	v_add_f64_e64 v[20:21], v[28:29], -v[32:33]
	;; [unrolled: 1-line block ×4, first 2 shown]
	v_lshlrev_b64_e32 v[26:27], 4, v[42:43]
	v_lshlrev_b64_e32 v[28:29], 4, v[44:45]
	;; [unrolled: 1-line block ×3, first 2 shown]
	v_mov_b32_e32 v39, v48
	v_lshlrev_b64_e32 v[32:33], 4, v[36:37]
	v_mov_b32_e32 v41, v49
	v_add_co_u32 v26, vcc_lo, v12, v26
	s_wait_alu 0xfffd
	v_add_co_ci_u32_e32 v27, vcc_lo, v13, v27, vcc_lo
	v_add_co_u32 v28, vcc_lo, v12, v28
	s_wait_alu 0xfffd
	v_add_co_ci_u32_e32 v29, vcc_lo, v13, v29, vcc_lo
	v_lshlrev_b64_e32 v[34:35], 4, v[38:39]
	v_add_co_u32 v30, vcc_lo, v12, v30
	s_wait_alu 0xfffd
	v_add_co_ci_u32_e32 v31, vcc_lo, v13, v31, vcc_lo
	v_lshlrev_b64_e32 v[36:37], 4, v[40:41]
	v_add_co_u32 v32, vcc_lo, v12, v32
	s_wait_alu 0xfffd
	v_add_co_ci_u32_e32 v33, vcc_lo, v13, v33, vcc_lo
	v_add_co_u32 v34, vcc_lo, v12, v34
	s_wait_alu 0xfffd
	v_add_co_ci_u32_e32 v35, vcc_lo, v13, v35, vcc_lo
	;; [unrolled: 3-line block ×3, first 2 shown]
	s_clause 0x5
	global_store_b128 v[26:27], v[0:3], off
	global_store_b128 v[28:29], v[8:11], off
	;; [unrolled: 1-line block ×6, first 2 shown]
.LBB0_20:
	s_nop 0
	s_sendmsg sendmsg(MSG_DEALLOC_VGPRS)
	s_endpgm
	.section	.rodata,"a",@progbits
	.p2align	6, 0x0
	.amdhsa_kernel fft_rtc_fwd_len1734_factors_17_17_6_wgs_102_tpt_102_halfLds_dp_ip_CI_sbrr_dirReg
		.amdhsa_group_segment_fixed_size 0
		.amdhsa_private_segment_fixed_size 0
		.amdhsa_kernarg_size 88
		.amdhsa_user_sgpr_count 2
		.amdhsa_user_sgpr_dispatch_ptr 0
		.amdhsa_user_sgpr_queue_ptr 0
		.amdhsa_user_sgpr_kernarg_segment_ptr 1
		.amdhsa_user_sgpr_dispatch_id 0
		.amdhsa_user_sgpr_private_segment_size 0
		.amdhsa_wavefront_size32 1
		.amdhsa_uses_dynamic_stack 0
		.amdhsa_enable_private_segment 0
		.amdhsa_system_sgpr_workgroup_id_x 1
		.amdhsa_system_sgpr_workgroup_id_y 0
		.amdhsa_system_sgpr_workgroup_id_z 0
		.amdhsa_system_sgpr_workgroup_info 0
		.amdhsa_system_vgpr_workitem_id 0
		.amdhsa_next_free_vgpr 221
		.amdhsa_next_free_sgpr 58
		.amdhsa_reserve_vcc 1
		.amdhsa_float_round_mode_32 0
		.amdhsa_float_round_mode_16_64 0
		.amdhsa_float_denorm_mode_32 3
		.amdhsa_float_denorm_mode_16_64 3
		.amdhsa_fp16_overflow 0
		.amdhsa_workgroup_processor_mode 1
		.amdhsa_memory_ordered 1
		.amdhsa_forward_progress 0
		.amdhsa_round_robin_scheduling 0
		.amdhsa_exception_fp_ieee_invalid_op 0
		.amdhsa_exception_fp_denorm_src 0
		.amdhsa_exception_fp_ieee_div_zero 0
		.amdhsa_exception_fp_ieee_overflow 0
		.amdhsa_exception_fp_ieee_underflow 0
		.amdhsa_exception_fp_ieee_inexact 0
		.amdhsa_exception_int_div_zero 0
	.end_amdhsa_kernel
	.text
.Lfunc_end0:
	.size	fft_rtc_fwd_len1734_factors_17_17_6_wgs_102_tpt_102_halfLds_dp_ip_CI_sbrr_dirReg, .Lfunc_end0-fft_rtc_fwd_len1734_factors_17_17_6_wgs_102_tpt_102_halfLds_dp_ip_CI_sbrr_dirReg
                                        ; -- End function
	.section	.AMDGPU.csdata,"",@progbits
; Kernel info:
; codeLenInByte = 16504
; NumSgprs: 60
; NumVgprs: 221
; ScratchSize: 0
; MemoryBound: 1
; FloatMode: 240
; IeeeMode: 1
; LDSByteSize: 0 bytes/workgroup (compile time only)
; SGPRBlocks: 7
; VGPRBlocks: 27
; NumSGPRsForWavesPerEU: 60
; NumVGPRsForWavesPerEU: 221
; Occupancy: 6
; WaveLimiterHint : 1
; COMPUTE_PGM_RSRC2:SCRATCH_EN: 0
; COMPUTE_PGM_RSRC2:USER_SGPR: 2
; COMPUTE_PGM_RSRC2:TRAP_HANDLER: 0
; COMPUTE_PGM_RSRC2:TGID_X_EN: 1
; COMPUTE_PGM_RSRC2:TGID_Y_EN: 0
; COMPUTE_PGM_RSRC2:TGID_Z_EN: 0
; COMPUTE_PGM_RSRC2:TIDIG_COMP_CNT: 0
	.text
	.p2alignl 7, 3214868480
	.fill 96, 4, 3214868480
	.type	__hip_cuid_8e113b2c0166aecc,@object ; @__hip_cuid_8e113b2c0166aecc
	.section	.bss,"aw",@nobits
	.globl	__hip_cuid_8e113b2c0166aecc
__hip_cuid_8e113b2c0166aecc:
	.byte	0                               ; 0x0
	.size	__hip_cuid_8e113b2c0166aecc, 1

	.ident	"AMD clang version 19.0.0git (https://github.com/RadeonOpenCompute/llvm-project roc-6.4.0 25133 c7fe45cf4b819c5991fe208aaa96edf142730f1d)"
	.section	".note.GNU-stack","",@progbits
	.addrsig
	.addrsig_sym __hip_cuid_8e113b2c0166aecc
	.amdgpu_metadata
---
amdhsa.kernels:
  - .args:
      - .actual_access:  read_only
        .address_space:  global
        .offset:         0
        .size:           8
        .value_kind:     global_buffer
      - .offset:         8
        .size:           8
        .value_kind:     by_value
      - .actual_access:  read_only
        .address_space:  global
        .offset:         16
        .size:           8
        .value_kind:     global_buffer
      - .actual_access:  read_only
        .address_space:  global
        .offset:         24
        .size:           8
        .value_kind:     global_buffer
      - .offset:         32
        .size:           8
        .value_kind:     by_value
      - .actual_access:  read_only
        .address_space:  global
        .offset:         40
        .size:           8
        .value_kind:     global_buffer
      - .actual_access:  read_only
        .address_space:  global
        .offset:         48
        .size:           8
        .value_kind:     global_buffer
      - .offset:         56
        .size:           4
        .value_kind:     by_value
      - .actual_access:  read_only
        .address_space:  global
        .offset:         64
        .size:           8
        .value_kind:     global_buffer
      - .actual_access:  read_only
        .address_space:  global
        .offset:         72
        .size:           8
        .value_kind:     global_buffer
      - .address_space:  global
        .offset:         80
        .size:           8
        .value_kind:     global_buffer
    .group_segment_fixed_size: 0
    .kernarg_segment_align: 8
    .kernarg_segment_size: 88
    .language:       OpenCL C
    .language_version:
      - 2
      - 0
    .max_flat_workgroup_size: 102
    .name:           fft_rtc_fwd_len1734_factors_17_17_6_wgs_102_tpt_102_halfLds_dp_ip_CI_sbrr_dirReg
    .private_segment_fixed_size: 0
    .sgpr_count:     60
    .sgpr_spill_count: 0
    .symbol:         fft_rtc_fwd_len1734_factors_17_17_6_wgs_102_tpt_102_halfLds_dp_ip_CI_sbrr_dirReg.kd
    .uniform_work_group_size: 1
    .uses_dynamic_stack: false
    .vgpr_count:     221
    .vgpr_spill_count: 0
    .wavefront_size: 32
    .workgroup_processor_mode: 1
amdhsa.target:   amdgcn-amd-amdhsa--gfx1201
amdhsa.version:
  - 1
  - 2
...

	.end_amdgpu_metadata
